;; amdgpu-corpus repo=ROCm/aiter kind=harvested arch=n/a opt=n/a

/root/src/amdgpu-assembly/repos/ROCm__aiter/hsa/gfx950/fmoe/silu/fmoe_bf16_pertokenInt8_g1u0_vs_atm_opt_silu_1tg_32x512.co:	file format elf64-amdgpu

Disassembly of section .text:

0000000000002e00 <_ZN5aiter54fmoe_bf16_pertokenInt8_g1u0_vs_atm_opt_silu_1tg_32x512E>:
	s_and_b32 s1, s1, 0xffff                                   // 000000002E00: 8601FF01 0000FFFF
	s_load_dwordx2 s[8:9], s[0:1], 0x0                         // 000000002E08: C0060200 00000000
	s_load_dwordx2 s[20:21], s[0:1], 0x10                      // 000000002E10: C0060500 00000010
	s_load_dwordx2 s[24:25], s[0:1], 0x20                      // 000000002E18: C0060600 00000020
	s_load_dwordx2 s[50:51], s[0:1], 0x30                      // 000000002E20: C0060C80 00000030
	s_load_dwordx2 s[12:13], s[0:1], 0x40                      // 000000002E28: C0060300 00000040
	s_load_dwordx2 s[28:29], s[0:1], 0x50                      // 000000002E30: C0060700 00000050
	s_load_dwordx2 s[32:33], s[0:1], 0x60                      // 000000002E38: C0060800 00000060
	s_load_dwordx2 s[16:17], s[0:1], 0x70                      // 000000002E40: C0060400 00000070
	s_load_dwordx2 s[36:37], s[0:1], 0x80                      // 000000002E48: C0060900 00000080
	s_load_dwordx2 s[44:45], s[0:1], 0x90                      // 000000002E50: C0060B00 00000090
	s_load_dwordx2 s[40:41], s[0:1], 0xa0                      // 000000002E58: C0060A00 000000A0
	s_load_dwordx2 s[46:47], s[0:1], 0xb0                      // 000000002E60: C0060B80 000000B0
	s_load_dword s64, s[0:1], 0xc0                             // 000000002E68: C0021000 000000C0
	s_load_dword s65, s[0:1], 0xd0                             // 000000002E70: C0021040 000000D0
	s_load_dword s66, s[0:1], 0xe0                             // 000000002E78: C0021080 000000E0
	s_load_dword s67, s[0:1], 0xf0                             // 000000002E80: C00210C0 000000F0
	s_load_dword s68, s[0:1], 0x100                            // 000000002E88: C0021100 00000100
	s_load_dword s69, s[0:1], 0x110                            // 000000002E90: C0021140 00000110
	s_load_dword s70, s[0:1], 0x120                            // 000000002E98: C0021180 00000120
	s_load_dword s71, s[0:1], 0x130                            // 000000002EA0: C00211C0 00000130
	s_load_dword s72, s[0:1], 0x140                            // 000000002EA8: C0021200 00000140
	s_load_dword s73, s[0:1], 0x150                            // 000000002EB0: C0021240 00000150
	s_load_dword s74, s[0:1], 0x160                            // 000000002EB8: C0021280 00000160
	s_load_dword s75, s[0:1], 0x170                            // 000000002EC0: C00212C0 00000170
	s_load_dword s76, s[0:1], 0x180                            // 000000002EC8: C0021300 00000180
	s_load_dword s63, s[0:1], 0x190                            // 000000002ED0: C0020FC0 00000190
	v_lshrrev_b32_e32 v1, 10, v0                               // 000000002ED8: 2002008A
	v_lshrrev_b32_e32 v2, 10, v1                               // 000000002EDC: 2004028A
	v_and_b32_e32 v2, 0x3ff, v2                                // 000000002EE0: 260404FF 000003FF
	v_and_b32_e32 v1, 0x3ff, v1                                // 000000002EE8: 260202FF 000003FF
	v_and_b32_e32 v0, 0x3ff, v0                                // 000000002EF0: 260000FF 000003FF
	v_lshrrev_b32_e32 v3, 6, v0                                // 000000002EF8: 20060086
	v_and_b32_e32 v0, 63, v0                                   // 000000002EFC: 260000BF
	s_mov_b32 s2, s2                                           // 000000002F00: BE820002
	s_mov_b32 s3, s3                                           // 000000002F04: BE830003
	s_mov_b32 s4, s4                                           // 000000002F08: BE840004
	v_readfirstlane_b32 s5, v3                                 // 000000002F0C: 7E0A0503
	s_waitcnt lgkmcnt(0)                                       // 000000002F10: BF8CC07F
	s_and_b32 s51, s51, 0xffff                                 // 000000002F14: 8633FF33 0000FFFF
	s_load_dword s50, s[50:51], 0x0                            // 000000002F1C: C0020C99 00000000
	s_and_b32 s45, s45, 0xffff                                 // 000000002F24: 862DFF2D 0000FFFF
	s_and_b32 s47, s47, 0xffff                                 // 000000002F2C: 862FFF2F 0000FFFF
	s_and_b32 s9, s9, 0xffff                                   // 000000002F34: 8609FF09 0000FFFF
	s_mul_i32 s60, s66, s68                                    // 000000002F3C: 923C4442
	s_mul_i32 s60, s63, s60                                    // 000000002F40: 923C3C3F
	s_mul_i32 s61, s66, 4                                      // 000000002F44: 923D8442
	s_mul_i32 s61, s63, s61                                    // 000000002F48: 923D3D3F
	s_mov_b32 s22, s60                                         // 000000002F4C: BE96003C
	s_mov_b32 s26, -16                                         // 000000002F50: BE9A00D0
	s_mov_b32 s14, -16                                         // 000000002F54: BE8E00D0
	s_mov_b32 s42, -16                                         // 000000002F58: BEAA00D0
	s_mov_b32 s30, s61                                         // 000000002F5C: BE9E003D
	s_mov_b32 s34, -16                                         // 000000002F60: BEA200D0
	s_mov_b32 s38, -16                                         // 000000002F64: BEA600D0
	s_mov_b32 s18, -16                                         // 000000002F68: BE9200D0
	s_mov_b32 s23, 0x20000                                     // 000000002F6C: BE9700FF 00020000
	s_mov_b32 s27, 0x20000                                     // 000000002F74: BE9B00FF 00020000
	s_mov_b32 s15, 0x20000                                     // 000000002F7C: BE8F00FF 00020000
	s_mov_b32 s43, 0x20000                                     // 000000002F84: BEAB00FF 00020000
	s_mov_b32 s31, 0x20000                                     // 000000002F8C: BE9F00FF 00020000
	s_mov_b32 s35, 0x20000                                     // 000000002F94: BEA300FF 00020000
	s_mov_b32 s39, 0x20000                                     // 000000002F9C: BEA700FF 00020000
	s_mov_b32 s19, 0x20000                                     // 000000002FA4: BE9300FF 00020000
	s_and_b32 s21, s21, 0xffff                                 // 000000002FAC: 8615FF15 0000FFFF
	s_and_b32 s25, s25, 0xffff                                 // 000000002FB4: 8619FF19 0000FFFF
	s_and_b32 s13, s13, 0xffff                                 // 000000002FBC: 860DFF0D 0000FFFF
	s_and_b32 s41, s41, 0xffff                                 // 000000002FC4: 8629FF29 0000FFFF
	s_and_b32 s29, s29, 0xffff                                 // 000000002FCC: 861DFF1D 0000FFFF
	s_and_b32 s33, s33, 0xffff                                 // 000000002FD4: 8621FF21 0000FFFF
	s_and_b32 s37, s37, 0xffff                                 // 000000002FDC: 8625FF25 0000FFFF
	s_and_b32 s17, s17, 0xffff                                 // 000000002FE4: 8611FF11 0000FFFF
	s_or_b32 s21, s21, 0x40000                                 // 000000002FEC: 8715FF15 00040000
	s_or_b32 s25, s25, 0x40000                                 // 000000002FF4: 8719FF19 00040000
	s_or_b32 s13, s13, 0x40000                                 // 000000002FFC: 870DFF0D 00040000
	s_or_b32 s41, s41, 0x40000                                 // 000000003004: 8729FF29 00040000
	s_or_b32 s29, s29, 0x40000                                 // 00000000300C: 871DFF1D 00040000
	s_or_b32 s33, s33, 0x40000                                 // 000000003014: 8721FF21 00040000
	s_or_b32 s37, s37, 0x40000                                 // 00000000301C: 8725FF25 00040000
	s_or_b32 s17, s17, 0x40000                                 // 000000003024: 8711FF11 00040000
	v_accvgpr_write_b32 a255, 0                                // 00000000302C: D3D940FF 18000080
	v_mov_b32_e32 v255, 0                                      // 000000003034: 7FFE0280
	s_waitcnt lgkmcnt(0)                                       // 000000003038: BF8CC07F
	s_mul_i32 s60, s3, 32                                      // 00000000303C: 923CA003
	s_cmp_lt_i32 s60, s50                                      // 000000003040: BF04323C
	s_cbranch_scc0 label_226C                                  // 000000003044: BF8421DA
	s_mov_b32 s80, 0                                           // 000000003048: BED00080
	s_mov_b32 s81, s64                                         // 00000000304C: BED10040
	s_mul_i32 s60, s3, 4                                       // 000000003050: 923C8403
	s_add_u32 s46, s60, s46                                    // 000000003054: 802E2E3C
	s_addc_u32 s47, 0, s47                                     // 000000003058: 822F2F80
	s_load_dword s77, s[46:47], 0x0                            // 00000000305C: C0021357 00000000
	s_mul_i32 s60, s3, 32                                      // 000000003064: 923CA003
	s_mul_i32 s60, 4, s60                                      // 000000003068: 923C3C84
	v_and_b32_e32 v54, 15, v0                                  // 00000000306C: 266C008F
	v_lshlrev_b32_e32 v54, 2, v54                              // 000000003070: 246C6C82
	v_add_u32_e32 v54, s60, v54                                // 000000003074: 686C6C3C
	v_mov_b32_e32 v55, 0                                       // 000000003078: 7E6E0280
	global_load_dword v6, v54, s[44:45]                        // 00000000307C: DC508000 062C0036
	v_add_u32_e32 v54, 64, v54                                 // 000000003084: 686C6CC0
	global_load_dword v7, v54, s[44:45]                        // 000000003088: DC508000 072C0036
	s_mul_i32 s60, s3, 32                                      // 000000003090: 923CA003
	s_add_u32 s60, s5, s60                                     // 000000003094: 803C3C05
	s_mul_i32 s60, 4, s60                                      // 000000003098: 923C3C84
	s_add_u32 s44, s60, s44                                    // 00000000309C: 802C2C3C
	s_addc_u32 s45, 0, s45                                     // 0000000030A0: 822D2D80
	s_load_dword s84, s[44:45], 0x0                            // 0000000030A4: C0021516 00000000
	s_load_dword s85, s[44:45], 0x10                           // 0000000030AC: C0021556 00000010
	s_load_dword s86, s[44:45], 0x20                           // 0000000030B4: C0021596 00000020
	s_load_dword s87, s[44:45], 0x30                           // 0000000030BC: C00215D6 00000030
	s_load_dword s88, s[44:45], 0x40                           // 0000000030C4: C0021616 00000040
	s_load_dword s89, s[44:45], 0x50                           // 0000000030CC: C0021656 00000050
	s_load_dword s90, s[44:45], 0x60                           // 0000000030D4: C0021696 00000060
	s_load_dword s91, s[44:45], 0x70                           // 0000000030DC: C00216D6 00000070
	s_waitcnt lgkmcnt(0)                                       // 0000000030E4: BF8CC07F
	v_lshlrev_b32_e32 v54, 2, v0                               // 0000000030E8: 246C0082
	s_lshr_b32 s61, s84, 24                                    // 0000000030EC: 8F3D9854
	s_mul_i32 s61, s61, s68                                    // 0000000030F0: 923D443D
	s_mul_i32 s61, s61, s66                                    // 0000000030F4: 923D423D
	s_and_b32 s84, s84, 0xffffff                               // 0000000030F8: 8654FF54 00FFFFFF
	s_mul_i32 s60, s84, s68                                    // 000000003100: 923C4454
	s_add_u32 s60, s61, s60                                    // 000000003104: 803C3C3D
	v_add_u32_e64 v26, v54, s60                                // 000000003108: D134001A 00007936
	s_lshr_b32 s61, s85, 24                                    // 000000003110: 8F3D9855
	s_mul_i32 s61, s61, s68                                    // 000000003114: 923D443D
	s_mul_i32 s61, s61, s66                                    // 000000003118: 923D423D
	s_and_b32 s85, s85, 0xffffff                               // 00000000311C: 8655FF55 00FFFFFF
	s_mul_i32 s60, s85, s68                                    // 000000003124: 923C4455
	s_add_u32 s60, s61, s60                                    // 000000003128: 803C3C3D
	v_add_u32_e64 v27, v54, s60                                // 00000000312C: D134001B 00007936
	s_lshr_b32 s61, s86, 24                                    // 000000003134: 8F3D9856
	s_mul_i32 s61, s61, s68                                    // 000000003138: 923D443D
	s_mul_i32 s61, s61, s66                                    // 00000000313C: 923D423D
	s_and_b32 s86, s86, 0xffffff                               // 000000003140: 8656FF56 00FFFFFF
	s_mul_i32 s60, s86, s68                                    // 000000003148: 923C4456
	s_add_u32 s60, s61, s60                                    // 00000000314C: 803C3C3D
	v_add_u32_e64 v28, v54, s60                                // 000000003150: D134001C 00007936
	s_lshr_b32 s61, s87, 24                                    // 000000003158: 8F3D9857
	s_mul_i32 s61, s61, s68                                    // 00000000315C: 923D443D
	s_mul_i32 s61, s61, s66                                    // 000000003160: 923D423D
	s_and_b32 s87, s87, 0xffffff                               // 000000003164: 8657FF57 00FFFFFF
	s_mul_i32 s60, s87, s68                                    // 00000000316C: 923C4457
	s_add_u32 s60, s61, s60                                    // 000000003170: 803C3C3D
	v_add_u32_e64 v29, v54, s60                                // 000000003174: D134001D 00007936
	s_lshr_b32 s61, s88, 24                                    // 00000000317C: 8F3D9858
	s_mul_i32 s61, s61, s68                                    // 000000003180: 923D443D
	s_mul_i32 s61, s61, s66                                    // 000000003184: 923D423D
	s_and_b32 s88, s88, 0xffffff                               // 000000003188: 8658FF58 00FFFFFF
	s_mul_i32 s60, s88, s68                                    // 000000003190: 923C4458
	s_add_u32 s60, s61, s60                                    // 000000003194: 803C3C3D
	v_add_u32_e64 v30, v54, s60                                // 000000003198: D134001E 00007936
	s_lshr_b32 s61, s89, 24                                    // 0000000031A0: 8F3D9859
	s_mul_i32 s61, s61, s68                                    // 0000000031A4: 923D443D
	s_mul_i32 s61, s61, s66                                    // 0000000031A8: 923D423D
	s_and_b32 s89, s89, 0xffffff                               // 0000000031AC: 8659FF59 00FFFFFF
	s_mul_i32 s60, s89, s68                                    // 0000000031B4: 923C4459
	s_add_u32 s60, s61, s60                                    // 0000000031B8: 803C3C3D
	v_add_u32_e64 v31, v54, s60                                // 0000000031BC: D134001F 00007936
	s_lshr_b32 s61, s90, 24                                    // 0000000031C4: 8F3D985A
	s_mul_i32 s61, s61, s68                                    // 0000000031C8: 923D443D
	s_mul_i32 s61, s61, s66                                    // 0000000031CC: 923D423D
	s_and_b32 s90, s90, 0xffffff                               // 0000000031D0: 865AFF5A 00FFFFFF
	s_mul_i32 s60, s90, s68                                    // 0000000031D8: 923C445A
	s_add_u32 s60, s61, s60                                    // 0000000031DC: 803C3C3D
	v_add_u32_e64 v32, v54, s60                                // 0000000031E0: D1340020 00007936
	s_lshr_b32 s61, s91, 24                                    // 0000000031E8: 8F3D985B
	s_mul_i32 s61, s61, s68                                    // 0000000031EC: 923D443D
	s_mul_i32 s61, s61, s66                                    // 0000000031F0: 923D423D
	s_and_b32 s91, s91, 0xffffff                               // 0000000031F4: 865BFF5B 00FFFFFF
	s_mul_i32 s60, s91, s68                                    // 0000000031FC: 923C445B
	s_add_u32 s60, s61, s60                                    // 000000003200: 803C3C3D
	v_add_u32_e64 v33, v54, s60                                // 000000003204: D1340021 00007936
	v_lshlrev_b32_e32 v54, 2, v0                               // 00000000320C: 246C0082
	s_mul_i32 s60, s84, s71                                    // 000000003210: 923C4754
	v_add_u32_e64 v80, v54, s60                                // 000000003214: D1340050 00007936
	v_mov_b32_e32 v81, 0                                       // 00000000321C: 7EA20280
	s_mul_i32 s60, s85, s71                                    // 000000003220: 923C4755
	v_add_u32_e64 v82, v54, s60                                // 000000003224: D1340052 00007936
	v_mov_b32_e32 v83, 0                                       // 00000000322C: 7EA60280
	s_mul_i32 s60, s86, s71                                    // 000000003230: 923C4756
	v_add_u32_e64 v84, v54, s60                                // 000000003234: D1340054 00007936
	v_mov_b32_e32 v85, 0                                       // 00000000323C: 7EAA0280
	s_mul_i32 s60, s87, s71                                    // 000000003240: 923C4757
	v_add_u32_e64 v86, v54, s60                                // 000000003244: D1340056 00007936
	v_mov_b32_e32 v87, 0                                       // 00000000324C: 7EAE0280
	s_mul_i32 s60, s88, s71                                    // 000000003250: 923C4758
	v_add_u32_e64 v88, v54, s60                                // 000000003254: D1340058 00007936
	v_mov_b32_e32 v89, 0                                       // 00000000325C: 7EB20280
	s_mul_i32 s60, s89, s71                                    // 000000003260: 923C4759
	v_add_u32_e64 v90, v54, s60                                // 000000003264: D134005A 00007936
	v_mov_b32_e32 v91, 0                                       // 00000000326C: 7EB60280
	s_mul_i32 s60, s90, s71                                    // 000000003270: 923C475A
	v_add_u32_e64 v92, v54, s60                                // 000000003274: D134005C 00007936
	v_mov_b32_e32 v93, 0                                       // 00000000327C: 7EBA0280
	s_mul_i32 s60, s91, s71                                    // 000000003280: 923C475B
	v_add_u32_e64 v94, v54, s60                                // 000000003284: D134005E 00007936
	v_mov_b32_e32 v95, 0                                       // 00000000328C: 7EBE0280
	s_mul_i32 s60, s5, 0x820                                   // 000000003290: 923CFF05 00000820
	s_add_u32 s50, 0, s60                                      // 000000003298: 80323C80
	s_add_u32 s51, 0x2080, s50                                 // 00000000329C: 803332FF 00002080
	v_lshrrev_b32_e32 v54, 4, v0                               // 0000000032A4: 206C0084
	v_lshlrev_b32_e32 v55, 2, v54                              // 0000000032A8: 246E6C82
	v_and_b32_e32 v54, 15, v0                                  // 0000000032AC: 266C008F
	v_lshrrev_b32_e32 v56, 2, v54                              // 0000000032B0: 20706C82
	v_lshlrev_b32_e32 v56, 6, v56                              // 0000000032B4: 24707086
	v_add_u32_e32 v55, v56, v55                                // 0000000032B8: 686E6F38
	v_and_b32_e32 v54, 3, v0                                   // 0000000032BC: 266C0083
	v_mul_i32_i24_e32 v56, 0x208, v54                          // 0000000032C0: 0C706CFF 00000208
	v_add_u32_e32 v55, v56, v55                                // 0000000032C8: 686E6F38
	v_lshlrev_b32_e32 v2, 2, v55                               // 0000000032CC: 24046E82
	s_mul_i32 s60, s2, 0x200                                   // 0000000032D0: 923CFF02 00000200
	s_mul_i32 s60, s60, s69                                    // 0000000032D8: 923C453C
	s_mul_i32 s61, s77, s72                                    // 0000000032DC: 923D484D
	s_add_u32 s60, s61, s60                                    // 0000000032E0: 803C3C3D
	s_add_u32 s24, s60, s24                                    // 0000000032E4: 8018183C
	s_addc_u32 s25, 0, s25                                     // 0000000032E8: 82191980
	s_mul_i32 s60, s5, 16                                      // 0000000032EC: 923C9005
	s_mul_i32 s60, s60, s69                                    // 0000000032F0: 923C453C
	v_lshlrev_b32_e32 v34, 4, v0                               // 0000000032F4: 24440084
	v_add_u32_e32 v34, s60, v34                                // 0000000032F8: 6844443C
	s_mul_i32 s60, 64, s69                                     // 0000000032FC: 923C45C0
	v_add_u32_e32 v35, s60, v34                                // 000000003300: 6846443C
	v_add_u32_e32 v36, s60, v35                                // 000000003304: 6848463C
	v_add_u32_e32 v37, s60, v36                                // 000000003308: 684A483C
	v_add_u32_e32 v38, s60, v37                                // 00000000330C: 684C4A3C
	v_add_u32_e32 v39, s60, v38                                // 000000003310: 684E4C3C
	v_add_u32_e32 v40, s60, v39                                // 000000003314: 68504E3C
	v_add_u32_e32 v41, s60, v40                                // 000000003318: 6852503C
	s_mul_i32 s60, s2, 0x2000                                  // 00000000331C: 923CFF02 00002000
	s_mul_i32 s61, s77, s73                                    // 000000003324: 923D494D
	s_add_u32 s60, s61, s60                                    // 000000003328: 803C3C3D
	s_add_u32 s12, s60, s12                                    // 00000000332C: 800C0C3C
	s_addc_u32 s13, 0, s13                                     // 000000003330: 820D0D80
	s_mul_i32 s60, s5, 16                                      // 000000003334: 923C9005
	s_mul_i32 s60, s60, s70                                    // 000000003338: 923C463C
	v_lshlrev_b32_e32 v42, 4, v0                               // 00000000333C: 24540084
	v_add_u32_e32 v42, s60, v42                                // 000000003340: 6854543C
	s_mul_i32 s60, 64, s70                                     // 000000003344: 923C46C0
	v_add_u32_e32 v43, s60, v42                                // 000000003348: 6856543C
	v_add_u32_e32 v44, s60, v43                                // 00000000334C: 6858563C
	v_add_u32_e32 v45, s60, v44                                // 000000003350: 685A583C
	s_mul_i32 s60, s3, 32                                      // 000000003354: 923CA003
	s_mul_i32 s60, 4, s60                                      // 000000003358: 923C3C84
	s_add_u32 s40, s60, s40                                    // 00000000335C: 8028283C
	s_addc_u32 s41, 0, s41                                     // 000000003360: 82292980
	v_and_b32_e32 v54, 15, v0                                  // 000000003364: 266C008F
	v_lshlrev_b32_e32 v8, 2, v54                               // 000000003368: 24106C82
	v_add_u32_e32 v9, 64, v8                                   // 00000000336C: 681210C0
	v_lshrrev_b32_e32 v54, 4, v0                               // 000000003370: 206C0084
	v_lshlrev_b32_e32 v55, 2, v54                              // 000000003374: 246E6C82
	v_and_b32_e32 v54, 15, v0                                  // 000000003378: 266C008F
	v_lshrrev_b32_e32 v56, 2, v54                              // 00000000337C: 20706C82
	v_lshlrev_b32_e32 v56, 6, v56                              // 000000003380: 24707086
	v_add_u32_e32 v55, v56, v55                                // 000000003384: 686E6F38
	v_and_b32_e32 v54, 3, v0                                   // 000000003388: 266C0083
	v_add_u32_e32 v55, v54, v55                                // 00000000338C: 686E6F36
	v_lshlrev_b32_e32 v10, 2, v55                              // 000000003390: 24146E82
	v_add_u32_e32 v11, 0x400, v10                              // 000000003394: 681614FF 00000400
	s_mul_i32 s60, s5, 16                                      // 00000000339C: 923C9005
	s_mul_i32 s60, s60, 4                                      // 0000000033A0: 923C843C
	v_add_u32_e32 v10, s60, v10                                // 0000000033A4: 6814143C
	v_add_u32_e32 v11, s60, v11                                // 0000000033A8: 6816163C
	v_mov_b32_e32 v5, v10                                      // 0000000033AC: 7E0A030A
	s_mul_i32 s60, s2, 0x200                                   // 0000000033B0: 923CFF02 00000200
	s_mul_i32 s60, s60, 4                                      // 0000000033B8: 923C843C
	s_mul_i32 s61, s77, s74                                    // 0000000033BC: 923D4A4D
	s_add_u32 s61, s61, s60                                    // 0000000033C0: 803D3C3D
	s_mul_i32 s62, s77, s76                                    // 0000000033C4: 923E4C4D
	s_add_u32 s62, s62, s60                                    // 0000000033C8: 803E3C3E
	s_add_u32 s32, s61, s32                                    // 0000000033CC: 8020203D
	s_addc_u32 s33, 0, s33                                     // 0000000033D0: 82212180
	s_add_u32 s36, s62, s36                                    // 0000000033D4: 8024243E
	s_addc_u32 s37, 0, s37                                     // 0000000033D8: 82252580
	s_mul_i32 s60, s77, s75                                    // 0000000033DC: 923C4B4D
	s_add_u32 s16, s60, s16                                    // 0000000033E0: 8010103C
	s_addc_u32 s17, 0, s17                                     // 0000000033E4: 82111180
	s_mov_b32 s57, 0x100                                       // 0000000033E8: BEB900FF 00000100
	s_mov_b32 s58, 0x1000                                      // 0000000033F0: BEBA00FF 00001000
	s_mov_b32 s79, 0x400                                       // 0000000033F8: BECF00FF 00000400
	s_mov_b32 s59, 0                                           // 000000003400: BEBB0080
	s_mul_i32 s60, s70, 0x100                                  // 000000003404: 923CFF46 00000100
	s_sub_u32 s56, s60, 0x1000                                 // 00000000340C: 80B8FF3C 00001000
	s_mov_b32 s78, 0x1000                                      // 000000003414: BECE00FF 00001000
	s_mov_b32 s52, 0x7060302                                   // 00000000341C: BEB400FF 07060302
	s_mov_b32 s53, 0x400                                       // 000000003424: BEB500FF 00000400
	s_mov_b32 s54, 0x40100                                     // 00000000342C: BEB600FF 00040100
	s_mov_b32 s55, 0x4020100                                   // 000000003434: BEB700FF 04020100
	s_mov_b32 s6, 0x3fb8aa3b                                   // 00000000343C: BE8600FF 3FB8AA3B
	s_mov_b32 s7, 0x3fb8aa3b                                   // 000000003444: BE8700FF 3FB8AA3B
	s_mov_b32 s82, 0xbd92220c                                  // 00000000344C: BED200FF BD92220C
	s_mov_b32 s83, 0xbd92220c                                  // 000000003454: BED300FF BD92220C
	s_mov_b32 m0, s50                                          // 00000000345C: BEFC0032
	v_mov_b32_e32 v58, 0xbfcc4231                              // 000000003460: 7E7402FF BFCC4231
	v_mov_b32_e32 v59, 0xbfcc4231                              // 000000003468: 7E7602FF BFCC4231
	v_mov_b32_e32 v51, 0xffff0000                              // 000000003470: 7E6602FF FFFF0000
	v_mov_b32_e32 v52, 0x7fff0000                              // 000000003478: 7E6802FF 7FFF0000
	v_mov_b32_e32 v53, 0x7fff                                  // 000000003480: 7E6A02FF 00007FFF
	s_waitcnt vmcnt(0) expcnt(0) lgkmcnt(0)                    // 000000003488: BF8C0000
	v_lshrrev_b32_e32 v54, 24, v6                              // 00000000348C: 206C0C98
	v_mul_i32_i24_e32 v54, s66, v54                            // 000000003490: 0C6C6C42
	v_and_b32_e32 v55, 0xffffff, v6                            // 000000003494: 266E0CFF 00FFFFFF
	v_add_u32_e32 v6, v54, v55                                 // 00000000349C: 680C6F36
	v_lshrrev_b32_e32 v54, 24, v7                              // 0000000034A0: 206C0E98
	v_mul_i32_i24_e32 v54, s66, v54                            // 0000000034A4: 0C6C6C42
	v_and_b32_e32 v55, 0xffffff, v7                            // 0000000034A8: 266E0EFF 00FFFFFF
	v_add_u32_e32 v7, v54, v55                                 // 0000000034B0: 680E6F36
	v_lshlrev_b32_e32 v6, 2, v6                                // 0000000034B4: 240C0C82
	v_lshlrev_b32_e32 v7, 2, v7                                // 0000000034B8: 240E0E82
	buffer_load_dword v14, v6, s[28:31], 0 offen               // 0000000034BC: E0501000 80070E06
	buffer_load_dword v15, v7, s[28:31], 0 offen               // 0000000034C4: E0501000 80070F07
	buffer_load_dword v16, v10, s[32:35], 0 offen              // 0000000034CC: E0501000 8008100A
	buffer_load_dword v17, v11, s[32:35], 0 offen              // 0000000034D4: E0501000 8008110B
	buffer_load_dword v18, v10, s[36:39], 0 offen              // 0000000034DC: E0501000 8009120A
	buffer_load_dword v19, v11, s[36:39], 0 offen              // 0000000034E4: E0501000 8009130B
	buffer_load_dword v20, v8, s[40:43], 0 offen               // 0000000034EC: E0501000 800A1408
	buffer_load_dword v21, v9, s[40:43], 0 offen               // 0000000034F4: E0501000 800A1509
	buffer_load_dword v26, s[20:23], 0 offen lds               // 0000000034FC: E0511000 8005001A
	s_add_u32 m0, 0x100, s50                                   // 000000003504: 807C32FF 00000100
	buffer_load_dword v27, s[20:23], 0 offen lds               // 00000000350C: E0511000 8005001B
	s_add_u32 m0, 0x200, s50                                   // 000000003514: 807C32FF 00000200
	buffer_load_dword v28, s[20:23], 0 offen lds               // 00000000351C: E0511000 8005001C
	s_add_u32 m0, 0x300, s50                                   // 000000003524: 807C32FF 00000300
	buffer_load_dword v29, s[20:23], 0 offen lds               // 00000000352C: E0511000 8005001D
	s_add_u32 m0, 0x400, s50                                   // 000000003534: 807C32FF 00000400
	buffer_load_dword v30, s[20:23], 0 offen lds               // 00000000353C: E0511000 8005001E
	s_add_u32 m0, 0x500, s50                                   // 000000003544: 807C32FF 00000500
	buffer_load_dword v31, s[20:23], 0 offen lds               // 00000000354C: E0511000 8005001F
	s_add_u32 m0, 0x600, s50                                   // 000000003554: 807C32FF 00000600
	buffer_load_dword v32, s[20:23], 0 offen lds               // 00000000355C: E0511000 80050020
	s_add_u32 m0, 0x700, s50                                   // 000000003564: 807C32FF 00000700
	buffer_load_dword v33, s[20:23], 0 offen lds               // 00000000356C: E0511000 80050021
	s_add_u32 m0, 0, s51                                       // 000000003574: 807C3380
	s_add_u32 s20, s57, s20                                    // 000000003578: 80141439
	s_addc_u32 s21, 0, s21                                     // 00000000357C: 82151580
	buffer_load_dword v26, s[20:23], 0 offen lds               // 000000003580: E0511000 8005001A
	s_add_u32 m0, 0x100, s51                                   // 000000003588: 807C33FF 00000100
	buffer_load_dword v27, s[20:23], 0 offen lds               // 000000003590: E0511000 8005001B
	s_add_u32 m0, 0x200, s51                                   // 000000003598: 807C33FF 00000200
	buffer_load_dword v28, s[20:23], 0 offen lds               // 0000000035A0: E0511000 8005001C
	s_add_u32 m0, 0x300, s51                                   // 0000000035A8: 807C33FF 00000300
	buffer_load_dword v29, s[20:23], 0 offen lds               // 0000000035B0: E0511000 8005001D
	s_add_u32 m0, 0x400, s51                                   // 0000000035B8: 807C33FF 00000400
	buffer_load_dword v30, s[20:23], 0 offen lds               // 0000000035C0: E0511000 8005001E
	s_add_u32 m0, 0x500, s51                                   // 0000000035C8: 807C33FF 00000500
	buffer_load_dword v31, s[20:23], 0 offen lds               // 0000000035D0: E0511000 8005001F
	s_add_u32 m0, 0x600, s51                                   // 0000000035D8: 807C33FF 00000600
	buffer_load_dword v32, s[20:23], 0 offen lds               // 0000000035E0: E0511000 80050020
	s_add_u32 m0, 0x700, s51                                   // 0000000035E8: 807C33FF 00000700
	buffer_load_dword v33, s[20:23], 0 offen lds               // 0000000035F0: E0511000 80050021
	s_add_u32 m0, 0, s50                                       // 0000000035F8: 807C3280
	s_add_u32 s20, s57, s20                                    // 0000000035FC: 80141439
	s_addc_u32 s21, 0, s21                                     // 000000003600: 82151580
	buffer_load_dwordx4 a[0:3], v34, s[24:27], 0 offen         // 000000003604: E05C1000 80860022
	buffer_load_dwordx4 a[4:7], v34, s[24:27], 0 offen offset:1024// 00000000360C: E05C1400 80860422
	buffer_load_dwordx4 a[8:11], v34, s[24:27], 0 offen offset:2048// 000000003614: E05C1800 80860822
	buffer_load_dwordx4 a[12:15], v34, s[24:27], 0 offen offset:3072// 00000000361C: E05C1C00 80860C22
	buffer_load_dwordx4 a[16:19], v35, s[24:27], 0 offen       // 000000003624: E05C1000 80861023
	buffer_load_dwordx4 a[20:23], v35, s[24:27], 0 offen offset:1024// 00000000362C: E05C1400 80861423
	buffer_load_dwordx4 a[24:27], v35, s[24:27], 0 offen offset:2048// 000000003634: E05C1800 80861823
	buffer_load_dwordx4 a[28:31], v35, s[24:27], 0 offen offset:3072// 00000000363C: E05C1C00 80861C23
	buffer_load_dwordx4 a[32:35], v36, s[24:27], 0 offen       // 000000003644: E05C1000 80862024
	buffer_load_dwordx4 a[36:39], v36, s[24:27], 0 offen offset:1024// 00000000364C: E05C1400 80862424
	buffer_load_dwordx4 a[40:43], v36, s[24:27], 0 offen offset:2048// 000000003654: E05C1800 80862824
	buffer_load_dwordx4 a[44:47], v36, s[24:27], 0 offen offset:3072// 00000000365C: E05C1C00 80862C24
	buffer_load_dwordx4 a[48:51], v37, s[24:27], 0 offen       // 000000003664: E05C1000 80863025
	buffer_load_dwordx4 a[52:55], v37, s[24:27], 0 offen offset:1024// 00000000366C: E05C1400 80863425
	buffer_load_dwordx4 a[56:59], v37, s[24:27], 0 offen offset:2048// 000000003674: E05C1800 80863825
	buffer_load_dwordx4 a[60:63], v37, s[24:27], 0 offen offset:3072// 00000000367C: E05C1C00 80863C25
	buffer_load_dwordx4 a[64:67], v38, s[24:27], 0 offen       // 000000003684: E05C1000 80864026
	buffer_load_dwordx4 a[68:71], v38, s[24:27], 0 offen offset:1024// 00000000368C: E05C1400 80864426
	buffer_load_dwordx4 a[72:75], v38, s[24:27], 0 offen offset:2048// 000000003694: E05C1800 80864826
	buffer_load_dwordx4 a[76:79], v38, s[24:27], 0 offen offset:3072// 00000000369C: E05C1C00 80864C26
	buffer_load_dwordx4 a[80:83], v39, s[24:27], 0 offen       // 0000000036A4: E05C1000 80865027
	buffer_load_dwordx4 a[84:87], v39, s[24:27], 0 offen offset:1024// 0000000036AC: E05C1400 80865427
	buffer_load_dwordx4 a[88:91], v39, s[24:27], 0 offen offset:2048// 0000000036B4: E05C1800 80865827
	buffer_load_dwordx4 a[92:95], v39, s[24:27], 0 offen offset:3072// 0000000036BC: E05C1C00 80865C27
	buffer_load_dwordx4 a[96:99], v40, s[24:27], 0 offen       // 0000000036C4: E05C1000 80866028
	buffer_load_dwordx4 a[100:103], v40, s[24:27], 0 offen offset:1024// 0000000036CC: E05C1400 80866428
	buffer_load_dwordx4 a[104:107], v40, s[24:27], 0 offen offset:2048// 0000000036D4: E05C1800 80866828
	buffer_load_dwordx4 a[108:111], v40, s[24:27], 0 offen offset:3072// 0000000036DC: E05C1C00 80866C28
	buffer_load_dwordx4 a[112:115], v41, s[24:27], 0 offen     // 0000000036E4: E05C1000 80867029
	buffer_load_dwordx4 a[116:119], v41, s[24:27], 0 offen offset:1024// 0000000036EC: E05C1400 80867429
	buffer_load_dwordx4 a[120:123], v41, s[24:27], 0 offen offset:2048// 0000000036F4: E05C1800 80867829
	buffer_load_dwordx4 a[124:127], v41, s[24:27], 0 offen offset:3072// 0000000036FC: E05C1C00 80867C29
	s_add_u32 s24, s58, s24                                    // 000000003704: 8018183A
	s_addc_u32 s25, 0, s25                                     // 000000003708: 82191980
	v_mov_b32_e32 v128, 0                                      // 00000000370C: 7F000280
	v_mov_b32_e32 v129, 0                                      // 000000003710: 7F020280
	v_mov_b32_e32 v130, 0                                      // 000000003714: 7F040280
	v_mov_b32_e32 v131, 0                                      // 000000003718: 7F060280
	v_mov_b32_e32 v132, 0                                      // 00000000371C: 7F080280
	v_mov_b32_e32 v133, 0                                      // 000000003720: 7F0A0280
	v_mov_b32_e32 v134, 0                                      // 000000003724: 7F0C0280
	v_mov_b32_e32 v135, 0                                      // 000000003728: 7F0E0280
	v_mov_b32_e32 v136, 0                                      // 00000000372C: 7F100280
	v_mov_b32_e32 v137, 0                                      // 000000003730: 7F120280
	v_mov_b32_e32 v138, 0                                      // 000000003734: 7F140280
	v_mov_b32_e32 v139, 0                                      // 000000003738: 7F160280
	v_mov_b32_e32 v140, 0                                      // 00000000373C: 7F180280
	v_mov_b32_e32 v141, 0                                      // 000000003740: 7F1A0280
	v_mov_b32_e32 v142, 0                                      // 000000003744: 7F1C0280
	v_mov_b32_e32 v143, 0                                      // 000000003748: 7F1E0280
	v_mov_b32_e32 v144, 0                                      // 00000000374C: 7F200280
	v_mov_b32_e32 v145, 0                                      // 000000003750: 7F220280
	v_mov_b32_e32 v146, 0                                      // 000000003754: 7F240280
	v_mov_b32_e32 v147, 0                                      // 000000003758: 7F260280
	v_mov_b32_e32 v148, 0                                      // 00000000375C: 7F280280
	v_mov_b32_e32 v149, 0                                      // 000000003760: 7F2A0280
	v_mov_b32_e32 v150, 0                                      // 000000003764: 7F2C0280
	v_mov_b32_e32 v151, 0                                      // 000000003768: 7F2E0280
	v_mov_b32_e32 v152, 0                                      // 00000000376C: 7F300280
	v_mov_b32_e32 v153, 0                                      // 000000003770: 7F320280
	v_mov_b32_e32 v154, 0                                      // 000000003774: 7F340280
	v_mov_b32_e32 v155, 0                                      // 000000003778: 7F360280
	v_mov_b32_e32 v156, 0                                      // 00000000377C: 7F380280
	v_mov_b32_e32 v157, 0                                      // 000000003780: 7F3A0280
	v_mov_b32_e32 v158, 0                                      // 000000003784: 7F3C0280
	v_mov_b32_e32 v159, 0                                      // 000000003788: 7F3E0280
	v_mov_b32_e32 v160, 0                                      // 00000000378C: 7F400280
	v_mov_b32_e32 v161, 0                                      // 000000003790: 7F420280
	v_mov_b32_e32 v162, 0                                      // 000000003794: 7F440280
	v_mov_b32_e32 v163, 0                                      // 000000003798: 7F460280
	v_mov_b32_e32 v164, 0                                      // 00000000379C: 7F480280
	v_mov_b32_e32 v165, 0                                      // 0000000037A0: 7F4A0280
	v_mov_b32_e32 v166, 0                                      // 0000000037A4: 7F4C0280
	v_mov_b32_e32 v167, 0                                      // 0000000037A8: 7F4E0280
	v_mov_b32_e32 v168, 0                                      // 0000000037AC: 7F500280
	v_mov_b32_e32 v169, 0                                      // 0000000037B0: 7F520280
	v_mov_b32_e32 v170, 0                                      // 0000000037B4: 7F540280
	v_mov_b32_e32 v171, 0                                      // 0000000037B8: 7F560280
	v_mov_b32_e32 v172, 0                                      // 0000000037BC: 7F580280
	v_mov_b32_e32 v173, 0                                      // 0000000037C0: 7F5A0280
	v_mov_b32_e32 v174, 0                                      // 0000000037C4: 7F5C0280
	v_mov_b32_e32 v175, 0                                      // 0000000037C8: 7F5E0280
	v_mov_b32_e32 v176, 0                                      // 0000000037CC: 7F600280
	v_mov_b32_e32 v177, 0                                      // 0000000037D0: 7F620280
	v_mov_b32_e32 v178, 0                                      // 0000000037D4: 7F640280
	v_mov_b32_e32 v179, 0                                      // 0000000037D8: 7F660280
	v_mov_b32_e32 v180, 0                                      // 0000000037DC: 7F680280
	v_mov_b32_e32 v181, 0                                      // 0000000037E0: 7F6A0280
	v_mov_b32_e32 v182, 0                                      // 0000000037E4: 7F6C0280
	v_mov_b32_e32 v183, 0                                      // 0000000037E8: 7F6E0280
	v_mov_b32_e32 v184, 0                                      // 0000000037EC: 7F700280
	v_mov_b32_e32 v185, 0                                      // 0000000037F0: 7F720280
	v_mov_b32_e32 v186, 0                                      // 0000000037F4: 7F740280
	v_mov_b32_e32 v187, 0                                      // 0000000037F8: 7F760280
	v_mov_b32_e32 v188, 0                                      // 0000000037FC: 7F780280
	v_mov_b32_e32 v189, 0                                      // 000000003800: 7F7A0280
	v_mov_b32_e32 v190, 0                                      // 000000003804: 7F7C0280
	v_mov_b32_e32 v191, 0                                      // 000000003808: 7F7E0280
	v_lshrrev_b32_e32 v54, 4, v0                               // 00000000380C: 206C0084
	v_mul_i32_i24_e32 v3, 34, v54                              // 000000003810: 0C066CA2
	v_and_b32_e32 v54, 15, v0                                  // 000000003814: 266C008F
	v_mul_i32_i24_e32 v55, 2, v54                              // 000000003818: 0C6E6C82
	v_add_u32_e32 v3, v55, v3                                  // 00000000381C: 68060737
	s_mul_i32 s60, s5, 0x88                                    // 000000003820: 923CFF05 00000088
	v_add_u32_e32 v3, s60, v3                                  // 000000003828: 6806063C
	v_lshlrev_b32_e32 v3, 2, v3                                // 00000000382C: 24060682
	v_lshrrev_b32_e32 v54, 1, v0                               // 000000003830: 206C0081
	v_mul_i32_i24_e32 v4, 34, v54                              // 000000003834: 0C086CA2
	v_and_b32_e32 v55, 1, v0                                   // 000000003838: 266E0081
	v_add_u32_e32 v4, v55, v4                                  // 00000000383C: 68080937
	s_mul_i32 s60, s5, 2                                       // 000000003840: 923C8205
	v_add_u32_e32 v4, s60, v4                                  // 000000003844: 6808083C
	v_lshlrev_b32_e32 v4, 2, v4                                // 000000003848: 24080882
	s_waitcnt vmcnt(40)                                        // 00000000384C: BF8C8F78
	s_barrier                                                  // 000000003850: BF8A0000
	ds_read_b128 v[192:195], v2                                // 000000003854: D9FE0000 C0000002
	ds_read_b128 v[196:199], v2 offset:64                      // 00000000385C: D9FE0040 C4000002
	ds_read_b128 v[200:203], v2 offset:128                     // 000000003864: D9FE0080 C8000002
	ds_read_b128 v[204:207], v2 offset:192                     // 00000000386C: D9FE00C0 CC000002
	ds_read_b128 v[208:211], v2 offset:1024                    // 000000003874: D9FE0400 D0000002
	ds_read_b128 v[212:215], v2 offset:1088                    // 00000000387C: D9FE0440 D4000002
	ds_read_b128 v[216:219], v2 offset:1152                    // 000000003884: D9FE0480 D8000002
	ds_read_b128 v[220:223], v2 offset:1216                    // 00000000388C: D9FE04C0 DC000002
	s_cmp_lt_i32 s5, 2                                         // 000000003894: BF048205
	s_cbranch_scc0 label_121F                                  // 000000003898: BF840F78

000000000000389c <label_02A7>:
	s_waitcnt vmcnt(24) lgkmcnt(0)                             // 00000000389C: BF8C4078
	s_barrier                                                  // 0000000038A0: BF8A0000
	v_mfma_i32_16x16x32_i8 v[128:131], a[0:1], v[192:193], v[128:131]// 0000000038A4: D3D70080 0E038100
	v_mfma_i32_16x16x32_i8 v[128:131], a[2:3], v[194:195], v[128:131]// 0000000038AC: D3D70080 0E038502
	buffer_load_dwordx4 a[128:131], v34, s[24:27], 0 offen     // 0000000038B4: E05C1000 80868022
	v_mfma_i32_16x16x32_i8 v[128:131], a[4:5], v[196:197], v[128:131]// 0000000038BC: D3D70080 0E038904
	v_mfma_i32_16x16x32_i8 v[128:131], a[6:7], v[198:199], v[128:131]// 0000000038C4: D3D70080 0E038D06
	buffer_load_dword v26, s[20:23], 0 offen lds               // 0000000038CC: E0511000 8005001A
	s_add_u32 m0, 0x100, s50                                   // 0000000038D4: 807C32FF 00000100
	v_mfma_i32_16x16x32_i8 v[128:131], a[8:9], v[200:201], v[128:131]// 0000000038DC: D3D70080 0E039108
	v_mfma_i32_16x16x32_i8 v[128:131], a[10:11], v[202:203], v[128:131]// 0000000038E4: D3D70080 0E03950A
	buffer_load_dwordx4 a[132:135], v34, s[24:27], 0 offen offset:1024// 0000000038EC: E05C1400 80868422
	v_mfma_i32_16x16x32_i8 v[128:131], a[12:13], v[204:205], v[128:131]// 0000000038F4: D3D70080 0E03990C
	v_mfma_i32_16x16x32_i8 v[128:131], a[14:15], v[206:207], v[128:131]// 0000000038FC: D3D70080 0E039D0E
	buffer_load_dword v27, s[20:23], 0 offen lds               // 000000003904: E0511000 8005001B
	s_add_u32 m0, 0x200, s50                                   // 00000000390C: 807C32FF 00000200
	v_mfma_i32_16x16x32_i8 v[132:135], a[0:1], v[208:209], v[132:135]// 000000003914: D3D70084 0E13A100
	v_mfma_i32_16x16x32_i8 v[132:135], a[2:3], v[210:211], v[132:135]// 00000000391C: D3D70084 0E13A502
	buffer_load_dwordx4 a[136:139], v34, s[24:27], 0 offen offset:2048// 000000003924: E05C1800 80868822
	v_mfma_i32_16x16x32_i8 v[132:135], a[4:5], v[212:213], v[132:135]// 00000000392C: D3D70084 0E13A904
	v_mfma_i32_16x16x32_i8 v[132:135], a[6:7], v[214:215], v[132:135]// 000000003934: D3D70084 0E13AD06
	buffer_load_dword v28, s[20:23], 0 offen lds               // 00000000393C: E0511000 8005001C
	s_add_u32 m0, 0x300, s50                                   // 000000003944: 807C32FF 00000300
	v_mfma_i32_16x16x32_i8 v[132:135], a[8:9], v[216:217], v[132:135]// 00000000394C: D3D70084 0E13B108
	v_mfma_i32_16x16x32_i8 v[132:135], a[10:11], v[218:219], v[132:135]// 000000003954: D3D70084 0E13B50A
	buffer_load_dwordx4 a[140:143], v34, s[24:27], 0 offen offset:3072// 00000000395C: E05C1C00 80868C22
	v_mfma_i32_16x16x32_i8 v[132:135], a[12:13], v[220:221], v[132:135]// 000000003964: D3D70084 0E13B90C
	v_mfma_i32_16x16x32_i8 v[132:135], a[14:15], v[222:223], v[132:135]// 00000000396C: D3D70084 0E13BD0E
	buffer_load_dword v29, s[20:23], 0 offen lds               // 000000003974: E0511000 8005001D
	s_add_u32 m0, 0x400, s50                                   // 00000000397C: 807C32FF 00000400
	v_mfma_i32_16x16x32_i8 v[136:139], a[16:17], v[192:193], v[136:139]// 000000003984: D3D70088 0E238110
	v_mfma_i32_16x16x32_i8 v[136:139], a[18:19], v[194:195], v[136:139]// 00000000398C: D3D70088 0E238512
	buffer_load_dwordx4 a[144:147], v35, s[24:27], 0 offen     // 000000003994: E05C1000 80869023
	v_mfma_i32_16x16x32_i8 v[136:139], a[20:21], v[196:197], v[136:139]// 00000000399C: D3D70088 0E238914
	v_mfma_i32_16x16x32_i8 v[136:139], a[22:23], v[198:199], v[136:139]// 0000000039A4: D3D70088 0E238D16
	buffer_load_dword v30, s[20:23], 0 offen lds               // 0000000039AC: E0511000 8005001E
	s_add_u32 m0, 0x500, s50                                   // 0000000039B4: 807C32FF 00000500
	v_mfma_i32_16x16x32_i8 v[136:139], a[24:25], v[200:201], v[136:139]// 0000000039BC: D3D70088 0E239118
	v_mfma_i32_16x16x32_i8 v[136:139], a[26:27], v[202:203], v[136:139]// 0000000039C4: D3D70088 0E23951A
	buffer_load_dwordx4 a[148:151], v35, s[24:27], 0 offen offset:1024// 0000000039CC: E05C1400 80869423
	v_mfma_i32_16x16x32_i8 v[136:139], a[28:29], v[204:205], v[136:139]// 0000000039D4: D3D70088 0E23991C
	v_mfma_i32_16x16x32_i8 v[136:139], a[30:31], v[206:207], v[136:139]// 0000000039DC: D3D70088 0E239D1E
	buffer_load_dword v31, s[20:23], 0 offen lds               // 0000000039E4: E0511000 8005001F
	s_add_u32 m0, 0x600, s50                                   // 0000000039EC: 807C32FF 00000600
	v_mfma_i32_16x16x32_i8 v[140:143], a[16:17], v[208:209], v[140:143]// 0000000039F4: D3D7008C 0E33A110
	v_mfma_i32_16x16x32_i8 v[140:143], a[18:19], v[210:211], v[140:143]// 0000000039FC: D3D7008C 0E33A512
	buffer_load_dwordx4 a[152:155], v35, s[24:27], 0 offen offset:2048// 000000003A04: E05C1800 80869823
	v_mfma_i32_16x16x32_i8 v[140:143], a[20:21], v[212:213], v[140:143]// 000000003A0C: D3D7008C 0E33A914
	v_mfma_i32_16x16x32_i8 v[140:143], a[22:23], v[214:215], v[140:143]// 000000003A14: D3D7008C 0E33AD16
	buffer_load_dword v32, s[20:23], 0 offen lds               // 000000003A1C: E0511000 80050020
	s_add_u32 m0, 0x700, s50                                   // 000000003A24: 807C32FF 00000700
	v_mfma_i32_16x16x32_i8 v[140:143], a[24:25], v[216:217], v[140:143]// 000000003A2C: D3D7008C 0E33B118
	v_mfma_i32_16x16x32_i8 v[140:143], a[26:27], v[218:219], v[140:143]// 000000003A34: D3D7008C 0E33B51A
	buffer_load_dwordx4 a[156:159], v35, s[24:27], 0 offen offset:3072// 000000003A3C: E05C1C00 80869C23
	v_mfma_i32_16x16x32_i8 v[140:143], a[28:29], v[220:221], v[140:143]// 000000003A44: D3D7008C 0E33B91C
	v_mfma_i32_16x16x32_i8 v[140:143], a[30:31], v[222:223], v[140:143]// 000000003A4C: D3D7008C 0E33BD1E
	buffer_load_dword v33, s[20:23], 0 offen lds               // 000000003A54: E0511000 80050021
	s_add_u32 m0, 0, s51                                       // 000000003A5C: 807C3380
	s_waitcnt vmcnt(32)                                        // 000000003A60: BF8C8F70
	v_mfma_i32_16x16x32_i8 v[144:147], a[32:33], v[192:193], v[144:147]// 000000003A64: D3D70090 0E438120
	v_mfma_i32_16x16x32_i8 v[144:147], a[34:35], v[194:195], v[144:147]// 000000003A6C: D3D70090 0E438522
	buffer_load_dwordx4 a[160:163], v36, s[24:27], 0 offen     // 000000003A74: E05C1000 8086A024
	v_mfma_i32_16x16x32_i8 v[144:147], a[36:37], v[196:197], v[144:147]// 000000003A7C: D3D70090 0E438924
	v_mfma_i32_16x16x32_i8 v[144:147], a[38:39], v[198:199], v[144:147]// 000000003A84: D3D70090 0E438D26
	ds_read_b128 v[224:227], v2 offset:8320                    // 000000003A8C: D9FE2080 E0000002
	v_mfma_i32_16x16x32_i8 v[144:147], a[40:41], v[200:201], v[144:147]// 000000003A94: D3D70090 0E439128
	v_mfma_i32_16x16x32_i8 v[144:147], a[42:43], v[202:203], v[144:147]// 000000003A9C: D3D70090 0E43952A
	buffer_load_dwordx4 a[164:167], v36, s[24:27], 0 offen offset:1024// 000000003AA4: E05C1400 8086A424
	v_mfma_i32_16x16x32_i8 v[144:147], a[44:45], v[204:205], v[144:147]// 000000003AAC: D3D70090 0E43992C
	v_mfma_i32_16x16x32_i8 v[144:147], a[46:47], v[206:207], v[144:147]// 000000003AB4: D3D70090 0E439D2E
	ds_read_b128 v[228:231], v2 offset:8384                    // 000000003ABC: D9FE20C0 E4000002
	v_mfma_i32_16x16x32_i8 v[148:151], a[32:33], v[208:209], v[148:151]// 000000003AC4: D3D70094 0E53A120
	v_mfma_i32_16x16x32_i8 v[148:151], a[34:35], v[210:211], v[148:151]// 000000003ACC: D3D70094 0E53A522
	buffer_load_dwordx4 a[168:171], v36, s[24:27], 0 offen offset:2048// 000000003AD4: E05C1800 8086A824
	v_mfma_i32_16x16x32_i8 v[148:151], a[36:37], v[212:213], v[148:151]// 000000003ADC: D3D70094 0E53A924
	v_mfma_i32_16x16x32_i8 v[148:151], a[38:39], v[214:215], v[148:151]// 000000003AE4: D3D70094 0E53AD26
	ds_read_b128 v[232:235], v2 offset:8448                    // 000000003AEC: D9FE2100 E8000002
	v_mfma_i32_16x16x32_i8 v[148:151], a[40:41], v[216:217], v[148:151]// 000000003AF4: D3D70094 0E53B128
	v_mfma_i32_16x16x32_i8 v[148:151], a[42:43], v[218:219], v[148:151]// 000000003AFC: D3D70094 0E53B52A
	buffer_load_dwordx4 a[172:175], v36, s[24:27], 0 offen offset:3072// 000000003B04: E05C1C00 8086AC24
	v_mfma_i32_16x16x32_i8 v[148:151], a[44:45], v[220:221], v[148:151]// 000000003B0C: D3D70094 0E53B92C
	v_mfma_i32_16x16x32_i8 v[148:151], a[46:47], v[222:223], v[148:151]// 000000003B14: D3D70094 0E53BD2E
	ds_read_b128 v[236:239], v2 offset:8512                    // 000000003B1C: D9FE2140 EC000002
	v_mfma_i32_16x16x32_i8 v[152:155], a[48:49], v[192:193], v[152:155]// 000000003B24: D3D70098 0E638130
	v_mfma_i32_16x16x32_i8 v[152:155], a[50:51], v[194:195], v[152:155]// 000000003B2C: D3D70098 0E638532
	buffer_load_dwordx4 a[176:179], v37, s[24:27], 0 offen     // 000000003B34: E05C1000 8086B025
	v_mfma_i32_16x16x32_i8 v[152:155], a[52:53], v[196:197], v[152:155]// 000000003B3C: D3D70098 0E638934
	v_mfma_i32_16x16x32_i8 v[152:155], a[54:55], v[198:199], v[152:155]// 000000003B44: D3D70098 0E638D36
	ds_read_b128 v[240:243], v2 offset:9344                    // 000000003B4C: D9FE2480 F0000002
	v_mfma_i32_16x16x32_i8 v[152:155], a[56:57], v[200:201], v[152:155]// 000000003B54: D3D70098 0E639138
	v_mfma_i32_16x16x32_i8 v[152:155], a[58:59], v[202:203], v[152:155]// 000000003B5C: D3D70098 0E63953A
	buffer_load_dwordx4 a[180:183], v37, s[24:27], 0 offen offset:1024// 000000003B64: E05C1400 8086B425
	v_mfma_i32_16x16x32_i8 v[152:155], a[60:61], v[204:205], v[152:155]// 000000003B6C: D3D70098 0E63993C
	v_mfma_i32_16x16x32_i8 v[152:155], a[62:63], v[206:207], v[152:155]// 000000003B74: D3D70098 0E639D3E
	ds_read_b128 v[244:247], v2 offset:9408                    // 000000003B7C: D9FE24C0 F4000002
	v_mfma_i32_16x16x32_i8 v[156:159], a[48:49], v[208:209], v[156:159]// 000000003B84: D3D7009C 0E73A130
	v_mfma_i32_16x16x32_i8 v[156:159], a[50:51], v[210:211], v[156:159]// 000000003B8C: D3D7009C 0E73A532
	buffer_load_dwordx4 a[184:187], v37, s[24:27], 0 offen offset:2048// 000000003B94: E05C1800 8086B825
	v_mfma_i32_16x16x32_i8 v[156:159], a[52:53], v[212:213], v[156:159]// 000000003B9C: D3D7009C 0E73A934
	v_mfma_i32_16x16x32_i8 v[156:159], a[54:55], v[214:215], v[156:159]// 000000003BA4: D3D7009C 0E73AD36
	ds_read_b128 v[248:251], v2 offset:9472                    // 000000003BAC: D9FE2500 F8000002
	v_mfma_i32_16x16x32_i8 v[156:159], a[56:57], v[216:217], v[156:159]// 000000003BB4: D3D7009C 0E73B138
	v_mfma_i32_16x16x32_i8 v[156:159], a[58:59], v[218:219], v[156:159]// 000000003BBC: D3D7009C 0E73B53A
	buffer_load_dwordx4 a[188:191], v37, s[24:27], 0 offen offset:3072// 000000003BC4: E05C1C00 8086BC25
	v_mfma_i32_16x16x32_i8 v[156:159], a[60:61], v[220:221], v[156:159]// 000000003BCC: D3D7009C 0E73B93C
	v_mfma_i32_16x16x32_i8 v[156:159], a[62:63], v[222:223], v[156:159]// 000000003BD4: D3D7009C 0E73BD3E
	ds_read_b128 v[252:255], v2 offset:9536                    // 000000003BDC: D9FE2540 FC000002
	s_waitcnt vmcnt(32)                                        // 000000003BE4: BF8C8F70
	v_mfma_i32_16x16x32_i8 v[160:163], a[64:65], v[192:193], v[160:163]// 000000003BE8: D3D700A0 0E838140
	v_mfma_i32_16x16x32_i8 v[160:163], a[66:67], v[194:195], v[160:163]// 000000003BF0: D3D700A0 0E838542
	buffer_load_dwordx4 a[192:195], v38, s[24:27], 0 offen     // 000000003BF8: E05C1000 8086C026
	v_mfma_i32_16x16x32_i8 v[160:163], a[68:69], v[196:197], v[160:163]// 000000003C00: D3D700A0 0E838944
	s_add_u32 s60, 0x300, s80                                  // 000000003C08: 803C50FF 00000300
	s_cmp_lt_u32 s60, s81                                      // 000000003C10: BF0A513C
	s_cselect_b32 s57, s57, 0                                  // 000000003C14: 85398039
	v_mfma_i32_16x16x32_i8 v[160:163], a[70:71], v[198:199], v[160:163]// 000000003C18: D3D700A0 0E838D46
	v_mfma_i32_16x16x32_i8 v[160:163], a[72:73], v[200:201], v[160:163]// 000000003C20: D3D700A0 0E839148
	v_mfma_i32_16x16x32_i8 v[160:163], a[74:75], v[202:203], v[160:163]// 000000003C28: D3D700A0 0E83954A
	buffer_load_dwordx4 a[196:199], v38, s[24:27], 0 offen offset:1024// 000000003C30: E05C1400 8086C426
	v_mfma_i32_16x16x32_i8 v[160:163], a[76:77], v[204:205], v[160:163]// 000000003C38: D3D700A0 0E83994C
	s_add_u32 s60, 0x200, s80                                  // 000000003C40: 803C50FF 00000200
	s_cmp_lt_u32 s60, s81                                      // 000000003C48: BF0A513C
	s_cselect_b32 s58, s58, 0                                  // 000000003C4C: 853A803A
	v_mfma_i32_16x16x32_i8 v[160:163], a[78:79], v[206:207], v[160:163]// 000000003C50: D3D700A0 0E839D4E
	v_mfma_i32_16x16x32_i8 v[164:167], a[64:65], v[208:209], v[164:167]// 000000003C58: D3D700A4 0E93A140
	v_mfma_i32_16x16x32_i8 v[164:167], a[66:67], v[210:211], v[164:167]// 000000003C60: D3D700A4 0E93A542
	buffer_load_dwordx4 a[200:203], v38, s[24:27], 0 offen offset:2048// 000000003C68: E05C1800 8086C826
	v_mfma_i32_16x16x32_i8 v[164:167], a[68:69], v[212:213], v[164:167]// 000000003C70: D3D700A4 0E93A944
	s_add_u32 s20, s57, s20                                    // 000000003C78: 80141439
	s_addc_u32 s21, 0, s21                                     // 000000003C7C: 82151580
	v_mfma_i32_16x16x32_i8 v[164:167], a[70:71], v[214:215], v[164:167]// 000000003C80: D3D700A4 0E93AD46
	v_mfma_i32_16x16x32_i8 v[164:167], a[72:73], v[216:217], v[164:167]// 000000003C88: D3D700A4 0E93B148
	v_mfma_i32_16x16x32_i8 v[164:167], a[74:75], v[218:219], v[164:167]// 000000003C90: D3D700A4 0E93B54A
	buffer_load_dwordx4 a[204:207], v38, s[24:27], 0 offen offset:3072// 000000003C98: E05C1C00 8086CC26
	v_mfma_i32_16x16x32_i8 v[164:167], a[76:77], v[220:221], v[164:167]// 000000003CA0: D3D700A4 0E93B94C
	v_mfma_i32_16x16x32_i8 v[164:167], a[78:79], v[222:223], v[164:167]// 000000003CA8: D3D700A4 0E93BD4E
	v_mfma_i32_16x16x32_i8 v[168:171], a[80:81], v[192:193], v[168:171]// 000000003CB0: D3D700A8 0EA38150
	v_mfma_i32_16x16x32_i8 v[168:171], a[82:83], v[194:195], v[168:171]// 000000003CB8: D3D700A8 0EA38552
	buffer_load_dwordx4 a[208:211], v39, s[24:27], 0 offen     // 000000003CC0: E05C1000 8086D027
	v_mfma_i32_16x16x32_i8 v[168:171], a[84:85], v[196:197], v[168:171]// 000000003CC8: D3D700A8 0EA38954
	v_mfma_i32_16x16x32_i8 v[168:171], a[86:87], v[198:199], v[168:171]// 000000003CD0: D3D700A8 0EA38D56
	v_mfma_i32_16x16x32_i8 v[168:171], a[88:89], v[200:201], v[168:171]// 000000003CD8: D3D700A8 0EA39158
	v_mfma_i32_16x16x32_i8 v[168:171], a[90:91], v[202:203], v[168:171]// 000000003CE0: D3D700A8 0EA3955A
	buffer_load_dwordx4 a[212:215], v39, s[24:27], 0 offen offset:1024// 000000003CE8: E05C1400 8086D427
	v_mfma_i32_16x16x32_i8 v[168:171], a[92:93], v[204:205], v[168:171]// 000000003CF0: D3D700A8 0EA3995C
	v_mfma_i32_16x16x32_i8 v[168:171], a[94:95], v[206:207], v[168:171]// 000000003CF8: D3D700A8 0EA39D5E
	v_mfma_i32_16x16x32_i8 v[172:175], a[80:81], v[208:209], v[172:175]// 000000003D00: D3D700AC 0EB3A150
	v_mfma_i32_16x16x32_i8 v[172:175], a[82:83], v[210:211], v[172:175]// 000000003D08: D3D700AC 0EB3A552
	buffer_load_dwordx4 a[216:219], v39, s[24:27], 0 offen offset:2048// 000000003D10: E05C1800 8086D827
	v_mfma_i32_16x16x32_i8 v[172:175], a[84:85], v[212:213], v[172:175]// 000000003D18: D3D700AC 0EB3A954
	v_mfma_i32_16x16x32_i8 v[172:175], a[86:87], v[214:215], v[172:175]// 000000003D20: D3D700AC 0EB3AD56
	v_mfma_i32_16x16x32_i8 v[172:175], a[88:89], v[216:217], v[172:175]// 000000003D28: D3D700AC 0EB3B158
	v_mfma_i32_16x16x32_i8 v[172:175], a[90:91], v[218:219], v[172:175]// 000000003D30: D3D700AC 0EB3B55A
	buffer_load_dwordx4 a[220:223], v39, s[24:27], 0 offen offset:3072// 000000003D38: E05C1C00 8086DC27
	v_mfma_i32_16x16x32_i8 v[172:175], a[92:93], v[220:221], v[172:175]// 000000003D40: D3D700AC 0EB3B95C
	v_mfma_i32_16x16x32_i8 v[172:175], a[94:95], v[222:223], v[172:175]// 000000003D48: D3D700AC 0EB3BD5E
	s_waitcnt vmcnt(32)                                        // 000000003D50: BF8C8F70
	v_mfma_i32_16x16x32_i8 v[176:179], a[96:97], v[192:193], v[176:179]// 000000003D54: D3D700B0 0EC38160
	v_mfma_i32_16x16x32_i8 v[176:179], a[98:99], v[194:195], v[176:179]// 000000003D5C: D3D700B0 0EC38562
	buffer_load_dwordx4 a[224:227], v40, s[24:27], 0 offen     // 000000003D64: E05C1000 8086E028
	v_mfma_i32_16x16x32_i8 v[176:179], a[100:101], v[196:197], v[176:179]// 000000003D6C: D3D700B0 0EC38964
	v_mfma_i32_16x16x32_i8 v[176:179], a[102:103], v[198:199], v[176:179]// 000000003D74: D3D700B0 0EC38D66
	v_mfma_i32_16x16x32_i8 v[176:179], a[104:105], v[200:201], v[176:179]// 000000003D7C: D3D700B0 0EC39168
	v_mfma_i32_16x16x32_i8 v[176:179], a[106:107], v[202:203], v[176:179]// 000000003D84: D3D700B0 0EC3956A
	buffer_load_dwordx4 a[228:231], v40, s[24:27], 0 offen offset:1024// 000000003D8C: E05C1400 8086E428
	v_mfma_i32_16x16x32_i8 v[176:179], a[108:109], v[204:205], v[176:179]// 000000003D94: D3D700B0 0EC3996C
	v_mfma_i32_16x16x32_i8 v[176:179], a[110:111], v[206:207], v[176:179]// 000000003D9C: D3D700B0 0EC39D6E
	v_mfma_i32_16x16x32_i8 v[180:183], a[96:97], v[208:209], v[180:183]// 000000003DA4: D3D700B4 0ED3A160
	v_mfma_i32_16x16x32_i8 v[180:183], a[98:99], v[210:211], v[180:183]// 000000003DAC: D3D700B4 0ED3A562
	buffer_load_dwordx4 a[232:235], v40, s[24:27], 0 offen offset:2048// 000000003DB4: E05C1800 8086E828
	v_mfma_i32_16x16x32_i8 v[180:183], a[100:101], v[212:213], v[180:183]// 000000003DBC: D3D700B4 0ED3A964
	v_mfma_i32_16x16x32_i8 v[180:183], a[102:103], v[214:215], v[180:183]// 000000003DC4: D3D700B4 0ED3AD66
	v_mfma_i32_16x16x32_i8 v[180:183], a[104:105], v[216:217], v[180:183]// 000000003DCC: D3D700B4 0ED3B168
	v_mfma_i32_16x16x32_i8 v[180:183], a[106:107], v[218:219], v[180:183]// 000000003DD4: D3D700B4 0ED3B56A
	buffer_load_dwordx4 a[236:239], v40, s[24:27], 0 offen offset:3072// 000000003DDC: E05C1C00 8086EC28
	v_mfma_i32_16x16x32_i8 v[180:183], a[108:109], v[220:221], v[180:183]// 000000003DE4: D3D700B4 0ED3B96C
	v_mfma_i32_16x16x32_i8 v[180:183], a[110:111], v[222:223], v[180:183]// 000000003DEC: D3D700B4 0ED3BD6E
	v_mfma_i32_16x16x32_i8 v[184:187], a[112:113], v[192:193], v[184:187]// 000000003DF4: D3D700B8 0EE38170
	v_mfma_i32_16x16x32_i8 v[184:187], a[114:115], v[194:195], v[184:187]// 000000003DFC: D3D700B8 0EE38572
	buffer_load_dwordx4 a[240:243], v41, s[24:27], 0 offen     // 000000003E04: E05C1000 8086F029
	v_mfma_i32_16x16x32_i8 v[184:187], a[116:117], v[196:197], v[184:187]// 000000003E0C: D3D700B8 0EE38974
	v_mfma_i32_16x16x32_i8 v[184:187], a[118:119], v[198:199], v[184:187]// 000000003E14: D3D700B8 0EE38D76
	v_mfma_i32_16x16x32_i8 v[184:187], a[120:121], v[200:201], v[184:187]// 000000003E1C: D3D700B8 0EE39178
	v_mfma_i32_16x16x32_i8 v[184:187], a[122:123], v[202:203], v[184:187]// 000000003E24: D3D700B8 0EE3957A
	buffer_load_dwordx4 a[244:247], v41, s[24:27], 0 offen offset:1024// 000000003E2C: E05C1400 8086F429
	v_mfma_i32_16x16x32_i8 v[184:187], a[124:125], v[204:205], v[184:187]// 000000003E34: D3D700B8 0EE3997C
	v_mfma_i32_16x16x32_i8 v[184:187], a[126:127], v[206:207], v[184:187]// 000000003E3C: D3D700B8 0EE39D7E
	v_mfma_i32_16x16x32_i8 v[188:191], a[112:113], v[208:209], v[188:191]// 000000003E44: D3D700BC 0EF3A170
	v_mfma_i32_16x16x32_i8 v[188:191], a[114:115], v[210:211], v[188:191]// 000000003E4C: D3D700BC 0EF3A572
	buffer_load_dwordx4 a[248:251], v41, s[24:27], 0 offen offset:2048// 000000003E54: E05C1800 8086F829
	v_mfma_i32_16x16x32_i8 v[188:191], a[116:117], v[212:213], v[188:191]// 000000003E5C: D3D700BC 0EF3A974
	v_mfma_i32_16x16x32_i8 v[188:191], a[118:119], v[214:215], v[188:191]// 000000003E64: D3D700BC 0EF3AD76
	v_mfma_i32_16x16x32_i8 v[188:191], a[120:121], v[216:217], v[188:191]// 000000003E6C: D3D700BC 0EF3B178
	v_mfma_i32_16x16x32_i8 v[188:191], a[122:123], v[218:219], v[188:191]// 000000003E74: D3D700BC 0EF3B57A
	buffer_load_dwordx4 a[252:255], v41, s[24:27], 0 offen offset:3072// 000000003E7C: E05C1C00 8086FC29
	v_mfma_i32_16x16x32_i8 v[188:191], a[124:125], v[220:221], v[188:191]// 000000003E84: D3D700BC 0EF3B97C
	s_add_u32 s24, s58, s24                                    // 000000003E8C: 8018183A
	s_addc_u32 s25, 0, s25                                     // 000000003E90: 82191980
	v_mfma_i32_16x16x32_i8 v[188:191], a[126:127], v[222:223], v[188:191]// 000000003E94: D3D700BC 0EF3BD7E
	s_addk_i32 s80, 0x100                                      // 000000003E9C: B7500100
	s_cmp_lt_i32 s80, s81                                      // 000000003EA0: BF045150
	s_cbranch_scc0 label_05AE                                  // 000000003EA4: BF840184
	s_waitcnt vmcnt(24) lgkmcnt(0)                             // 000000003EA8: BF8C4078
	s_barrier                                                  // 000000003EAC: BF8A0000
	v_mfma_i32_16x16x32_i8 v[128:131], a[128:129], v[224:225], v[128:131]// 000000003EB0: D3D70080 0E03C180
	v_mfma_i32_16x16x32_i8 v[128:131], a[130:131], v[226:227], v[128:131]// 000000003EB8: D3D70080 0E03C582
	buffer_load_dwordx4 a[0:3], v34, s[24:27], 0 offen         // 000000003EC0: E05C1000 80860022
	v_mfma_i32_16x16x32_i8 v[128:131], a[132:133], v[228:229], v[128:131]// 000000003EC8: D3D70080 0E03C984
	v_mfma_i32_16x16x32_i8 v[128:131], a[134:135], v[230:231], v[128:131]// 000000003ED0: D3D70080 0E03CD86
	buffer_load_dword v26, s[20:23], 0 offen lds               // 000000003ED8: E0511000 8005001A
	s_add_u32 m0, 0x100, s51                                   // 000000003EE0: 807C33FF 00000100
	v_mfma_i32_16x16x32_i8 v[128:131], a[136:137], v[232:233], v[128:131]// 000000003EE8: D3D70080 0E03D188
	v_mfma_i32_16x16x32_i8 v[128:131], a[138:139], v[234:235], v[128:131]// 000000003EF0: D3D70080 0E03D58A
	buffer_load_dwordx4 a[4:7], v34, s[24:27], 0 offen offset:1024// 000000003EF8: E05C1400 80860422
	v_mfma_i32_16x16x32_i8 v[128:131], a[140:141], v[236:237], v[128:131]// 000000003F00: D3D70080 0E03D98C
	v_mfma_i32_16x16x32_i8 v[128:131], a[142:143], v[238:239], v[128:131]// 000000003F08: D3D70080 0E03DD8E
	buffer_load_dword v27, s[20:23], 0 offen lds               // 000000003F10: E0511000 8005001B
	s_add_u32 m0, 0x200, s51                                   // 000000003F18: 807C33FF 00000200
	v_mfma_i32_16x16x32_i8 v[132:135], a[128:129], v[240:241], v[132:135]// 000000003F20: D3D70084 0E13E180
	v_mfma_i32_16x16x32_i8 v[132:135], a[130:131], v[242:243], v[132:135]// 000000003F28: D3D70084 0E13E582
	buffer_load_dwordx4 a[8:11], v34, s[24:27], 0 offen offset:2048// 000000003F30: E05C1800 80860822
	v_mfma_i32_16x16x32_i8 v[132:135], a[132:133], v[244:245], v[132:135]// 000000003F38: D3D70084 0E13E984
	v_mfma_i32_16x16x32_i8 v[132:135], a[134:135], v[246:247], v[132:135]// 000000003F40: D3D70084 0E13ED86
	buffer_load_dword v28, s[20:23], 0 offen lds               // 000000003F48: E0511000 8005001C
	s_add_u32 m0, 0x300, s51                                   // 000000003F50: 807C33FF 00000300
	v_mfma_i32_16x16x32_i8 v[132:135], a[136:137], v[248:249], v[132:135]// 000000003F58: D3D70084 0E13F188
	v_mfma_i32_16x16x32_i8 v[132:135], a[138:139], v[250:251], v[132:135]// 000000003F60: D3D70084 0E13F58A
	buffer_load_dwordx4 a[12:15], v34, s[24:27], 0 offen offset:3072// 000000003F68: E05C1C00 80860C22
	v_mfma_i32_16x16x32_i8 v[132:135], a[140:141], v[252:253], v[132:135]// 000000003F70: D3D70084 0E13F98C
	v_mfma_i32_16x16x32_i8 v[132:135], a[142:143], v[254:255], v[132:135]// 000000003F78: D3D70084 0E13FD8E
	buffer_load_dword v29, s[20:23], 0 offen lds               // 000000003F80: E0511000 8005001D
	s_add_u32 m0, 0x400, s51                                   // 000000003F88: 807C33FF 00000400
	v_mfma_i32_16x16x32_i8 v[136:139], a[144:145], v[224:225], v[136:139]// 000000003F90: D3D70088 0E23C190
	v_mfma_i32_16x16x32_i8 v[136:139], a[146:147], v[226:227], v[136:139]// 000000003F98: D3D70088 0E23C592
	buffer_load_dwordx4 a[16:19], v35, s[24:27], 0 offen       // 000000003FA0: E05C1000 80861023
	v_mfma_i32_16x16x32_i8 v[136:139], a[148:149], v[228:229], v[136:139]// 000000003FA8: D3D70088 0E23C994
	v_mfma_i32_16x16x32_i8 v[136:139], a[150:151], v[230:231], v[136:139]// 000000003FB0: D3D70088 0E23CD96
	buffer_load_dword v30, s[20:23], 0 offen lds               // 000000003FB8: E0511000 8005001E
	s_add_u32 m0, 0x500, s51                                   // 000000003FC0: 807C33FF 00000500
	v_mfma_i32_16x16x32_i8 v[136:139], a[152:153], v[232:233], v[136:139]// 000000003FC8: D3D70088 0E23D198
	v_mfma_i32_16x16x32_i8 v[136:139], a[154:155], v[234:235], v[136:139]// 000000003FD0: D3D70088 0E23D59A
	buffer_load_dwordx4 a[20:23], v35, s[24:27], 0 offen offset:1024// 000000003FD8: E05C1400 80861423
	v_mfma_i32_16x16x32_i8 v[136:139], a[156:157], v[236:237], v[136:139]// 000000003FE0: D3D70088 0E23D99C
	v_mfma_i32_16x16x32_i8 v[136:139], a[158:159], v[238:239], v[136:139]// 000000003FE8: D3D70088 0E23DD9E
	buffer_load_dword v31, s[20:23], 0 offen lds               // 000000003FF0: E0511000 8005001F
	s_add_u32 m0, 0x600, s51                                   // 000000003FF8: 807C33FF 00000600
	v_mfma_i32_16x16x32_i8 v[140:143], a[144:145], v[240:241], v[140:143]// 000000004000: D3D7008C 0E33E190
	v_mfma_i32_16x16x32_i8 v[140:143], a[146:147], v[242:243], v[140:143]// 000000004008: D3D7008C 0E33E592
	buffer_load_dwordx4 a[24:27], v35, s[24:27], 0 offen offset:2048// 000000004010: E05C1800 80861823
	v_mfma_i32_16x16x32_i8 v[140:143], a[148:149], v[244:245], v[140:143]// 000000004018: D3D7008C 0E33E994
	v_mfma_i32_16x16x32_i8 v[140:143], a[150:151], v[246:247], v[140:143]// 000000004020: D3D7008C 0E33ED96
	buffer_load_dword v32, s[20:23], 0 offen lds               // 000000004028: E0511000 80050020
	s_add_u32 m0, 0x700, s51                                   // 000000004030: 807C33FF 00000700
	v_mfma_i32_16x16x32_i8 v[140:143], a[152:153], v[248:249], v[140:143]// 000000004038: D3D7008C 0E33F198
	v_mfma_i32_16x16x32_i8 v[140:143], a[154:155], v[250:251], v[140:143]// 000000004040: D3D7008C 0E33F59A
	buffer_load_dwordx4 a[28:31], v35, s[24:27], 0 offen offset:3072// 000000004048: E05C1C00 80861C23
	v_mfma_i32_16x16x32_i8 v[140:143], a[156:157], v[252:253], v[140:143]// 000000004050: D3D7008C 0E33F99C
	v_mfma_i32_16x16x32_i8 v[140:143], a[158:159], v[254:255], v[140:143]// 000000004058: D3D7008C 0E33FD9E
	buffer_load_dword v33, s[20:23], 0 offen lds               // 000000004060: E0511000 80050021
	s_add_u32 m0, 0, s50                                       // 000000004068: 807C3280
	s_waitcnt vmcnt(32)                                        // 00000000406C: BF8C8F70
	v_mfma_i32_16x16x32_i8 v[144:147], a[160:161], v[224:225], v[144:147]// 000000004070: D3D70090 0E43C1A0
	v_mfma_i32_16x16x32_i8 v[144:147], a[162:163], v[226:227], v[144:147]// 000000004078: D3D70090 0E43C5A2
	buffer_load_dwordx4 a[32:35], v36, s[24:27], 0 offen       // 000000004080: E05C1000 80862024
	v_mfma_i32_16x16x32_i8 v[144:147], a[164:165], v[228:229], v[144:147]// 000000004088: D3D70090 0E43C9A4
	v_mfma_i32_16x16x32_i8 v[144:147], a[166:167], v[230:231], v[144:147]// 000000004090: D3D70090 0E43CDA6
	ds_read_b128 v[192:195], v2                                // 000000004098: D9FE0000 C0000002
	v_mfma_i32_16x16x32_i8 v[144:147], a[168:169], v[232:233], v[144:147]// 0000000040A0: D3D70090 0E43D1A8
	v_mfma_i32_16x16x32_i8 v[144:147], a[170:171], v[234:235], v[144:147]// 0000000040A8: D3D70090 0E43D5AA
	buffer_load_dwordx4 a[36:39], v36, s[24:27], 0 offen offset:1024// 0000000040B0: E05C1400 80862424
	v_mfma_i32_16x16x32_i8 v[144:147], a[172:173], v[236:237], v[144:147]// 0000000040B8: D3D70090 0E43D9AC
	v_mfma_i32_16x16x32_i8 v[144:147], a[174:175], v[238:239], v[144:147]// 0000000040C0: D3D70090 0E43DDAE
	ds_read_b128 v[196:199], v2 offset:64                      // 0000000040C8: D9FE0040 C4000002
	v_mfma_i32_16x16x32_i8 v[148:151], a[160:161], v[240:241], v[148:151]// 0000000040D0: D3D70094 0E53E1A0
	v_mfma_i32_16x16x32_i8 v[148:151], a[162:163], v[242:243], v[148:151]// 0000000040D8: D3D70094 0E53E5A2
	buffer_load_dwordx4 a[40:43], v36, s[24:27], 0 offen offset:2048// 0000000040E0: E05C1800 80862824
	v_mfma_i32_16x16x32_i8 v[148:151], a[164:165], v[244:245], v[148:151]// 0000000040E8: D3D70094 0E53E9A4
	v_mfma_i32_16x16x32_i8 v[148:151], a[166:167], v[246:247], v[148:151]// 0000000040F0: D3D70094 0E53EDA6
	ds_read_b128 v[200:203], v2 offset:128                     // 0000000040F8: D9FE0080 C8000002
	v_mfma_i32_16x16x32_i8 v[148:151], a[168:169], v[248:249], v[148:151]// 000000004100: D3D70094 0E53F1A8
	v_mfma_i32_16x16x32_i8 v[148:151], a[170:171], v[250:251], v[148:151]// 000000004108: D3D70094 0E53F5AA
	buffer_load_dwordx4 a[44:47], v36, s[24:27], 0 offen offset:3072// 000000004110: E05C1C00 80862C24
	v_mfma_i32_16x16x32_i8 v[148:151], a[172:173], v[252:253], v[148:151]// 000000004118: D3D70094 0E53F9AC
	v_mfma_i32_16x16x32_i8 v[148:151], a[174:175], v[254:255], v[148:151]// 000000004120: D3D70094 0E53FDAE
	ds_read_b128 v[204:207], v2 offset:192                     // 000000004128: D9FE00C0 CC000002
	v_mfma_i32_16x16x32_i8 v[152:155], a[176:177], v[224:225], v[152:155]// 000000004130: D3D70098 0E63C1B0
	v_mfma_i32_16x16x32_i8 v[152:155], a[178:179], v[226:227], v[152:155]// 000000004138: D3D70098 0E63C5B2
	buffer_load_dwordx4 a[48:51], v37, s[24:27], 0 offen       // 000000004140: E05C1000 80863025
	v_mfma_i32_16x16x32_i8 v[152:155], a[180:181], v[228:229], v[152:155]// 000000004148: D3D70098 0E63C9B4
	v_mfma_i32_16x16x32_i8 v[152:155], a[182:183], v[230:231], v[152:155]// 000000004150: D3D70098 0E63CDB6
	ds_read_b128 v[208:211], v2 offset:1024                    // 000000004158: D9FE0400 D0000002
	v_mfma_i32_16x16x32_i8 v[152:155], a[184:185], v[232:233], v[152:155]// 000000004160: D3D70098 0E63D1B8
	v_mfma_i32_16x16x32_i8 v[152:155], a[186:187], v[234:235], v[152:155]// 000000004168: D3D70098 0E63D5BA
	buffer_load_dwordx4 a[52:55], v37, s[24:27], 0 offen offset:1024// 000000004170: E05C1400 80863425
	v_mfma_i32_16x16x32_i8 v[152:155], a[188:189], v[236:237], v[152:155]// 000000004178: D3D70098 0E63D9BC
	v_mfma_i32_16x16x32_i8 v[152:155], a[190:191], v[238:239], v[152:155]// 000000004180: D3D70098 0E63DDBE
	ds_read_b128 v[212:215], v2 offset:1088                    // 000000004188: D9FE0440 D4000002
	v_mfma_i32_16x16x32_i8 v[156:159], a[176:177], v[240:241], v[156:159]// 000000004190: D3D7009C 0E73E1B0
	v_mfma_i32_16x16x32_i8 v[156:159], a[178:179], v[242:243], v[156:159]// 000000004198: D3D7009C 0E73E5B2
	buffer_load_dwordx4 a[56:59], v37, s[24:27], 0 offen offset:2048// 0000000041A0: E05C1800 80863825
	v_mfma_i32_16x16x32_i8 v[156:159], a[180:181], v[244:245], v[156:159]// 0000000041A8: D3D7009C 0E73E9B4
	v_mfma_i32_16x16x32_i8 v[156:159], a[182:183], v[246:247], v[156:159]// 0000000041B0: D3D7009C 0E73EDB6
	ds_read_b128 v[216:219], v2 offset:1152                    // 0000000041B8: D9FE0480 D8000002
	v_mfma_i32_16x16x32_i8 v[156:159], a[184:185], v[248:249], v[156:159]// 0000000041C0: D3D7009C 0E73F1B8
	v_mfma_i32_16x16x32_i8 v[156:159], a[186:187], v[250:251], v[156:159]// 0000000041C8: D3D7009C 0E73F5BA
	buffer_load_dwordx4 a[60:63], v37, s[24:27], 0 offen offset:3072// 0000000041D0: E05C1C00 80863C25
	v_mfma_i32_16x16x32_i8 v[156:159], a[188:189], v[252:253], v[156:159]// 0000000041D8: D3D7009C 0E73F9BC
	v_mfma_i32_16x16x32_i8 v[156:159], a[190:191], v[254:255], v[156:159]// 0000000041E0: D3D7009C 0E73FDBE
	ds_read_b128 v[220:223], v2 offset:1216                    // 0000000041E8: D9FE04C0 DC000002
	s_waitcnt vmcnt(32)                                        // 0000000041F0: BF8C8F70
	v_mfma_i32_16x16x32_i8 v[160:163], a[192:193], v[224:225], v[160:163]// 0000000041F4: D3D700A0 0E83C1C0
	v_mfma_i32_16x16x32_i8 v[160:163], a[194:195], v[226:227], v[160:163]// 0000000041FC: D3D700A0 0E83C5C2
	buffer_load_dwordx4 a[64:67], v38, s[24:27], 0 offen       // 000000004204: E05C1000 80864026
	v_mfma_i32_16x16x32_i8 v[160:163], a[196:197], v[228:229], v[160:163]// 00000000420C: D3D700A0 0E83C9C4
	s_add_u32 s60, 0x300, s80                                  // 000000004214: 803C50FF 00000300
	s_cmp_lt_u32 s60, s81                                      // 00000000421C: BF0A513C
	s_cselect_b32 s57, s57, 0                                  // 000000004220: 85398039
	v_mfma_i32_16x16x32_i8 v[160:163], a[198:199], v[230:231], v[160:163]// 000000004224: D3D700A0 0E83CDC6
	v_mfma_i32_16x16x32_i8 v[160:163], a[200:201], v[232:233], v[160:163]// 00000000422C: D3D700A0 0E83D1C8
	v_mfma_i32_16x16x32_i8 v[160:163], a[202:203], v[234:235], v[160:163]// 000000004234: D3D700A0 0E83D5CA
	buffer_load_dwordx4 a[68:71], v38, s[24:27], 0 offen offset:1024// 00000000423C: E05C1400 80864426
	v_mfma_i32_16x16x32_i8 v[160:163], a[204:205], v[236:237], v[160:163]// 000000004244: D3D700A0 0E83D9CC
	s_add_u32 s60, 0x200, s80                                  // 00000000424C: 803C50FF 00000200
	s_cmp_lt_u32 s60, s81                                      // 000000004254: BF0A513C
	s_cselect_b32 s58, s58, 0                                  // 000000004258: 853A803A
	v_mfma_i32_16x16x32_i8 v[160:163], a[206:207], v[238:239], v[160:163]// 00000000425C: D3D700A0 0E83DDCE
	v_mfma_i32_16x16x32_i8 v[164:167], a[192:193], v[240:241], v[164:167]// 000000004264: D3D700A4 0E93E1C0
	v_mfma_i32_16x16x32_i8 v[164:167], a[194:195], v[242:243], v[164:167]// 00000000426C: D3D700A4 0E93E5C2
	buffer_load_dwordx4 a[72:75], v38, s[24:27], 0 offen offset:2048// 000000004274: E05C1800 80864826
	v_mfma_i32_16x16x32_i8 v[164:167], a[196:197], v[244:245], v[164:167]// 00000000427C: D3D700A4 0E93E9C4
	s_add_u32 s20, s57, s20                                    // 000000004284: 80141439
	s_addc_u32 s21, 0, s21                                     // 000000004288: 82151580
	v_mfma_i32_16x16x32_i8 v[164:167], a[198:199], v[246:247], v[164:167]// 00000000428C: D3D700A4 0E93EDC6
	v_mfma_i32_16x16x32_i8 v[164:167], a[200:201], v[248:249], v[164:167]// 000000004294: D3D700A4 0E93F1C8
	v_mfma_i32_16x16x32_i8 v[164:167], a[202:203], v[250:251], v[164:167]// 00000000429C: D3D700A4 0E93F5CA
	buffer_load_dwordx4 a[76:79], v38, s[24:27], 0 offen offset:3072// 0000000042A4: E05C1C00 80864C26
	v_mfma_i32_16x16x32_i8 v[164:167], a[204:205], v[252:253], v[164:167]// 0000000042AC: D3D700A4 0E93F9CC
	v_mfma_i32_16x16x32_i8 v[164:167], a[206:207], v[254:255], v[164:167]// 0000000042B4: D3D700A4 0E93FDCE
	v_mfma_i32_16x16x32_i8 v[168:171], a[208:209], v[224:225], v[168:171]// 0000000042BC: D3D700A8 0EA3C1D0
	v_mfma_i32_16x16x32_i8 v[168:171], a[210:211], v[226:227], v[168:171]// 0000000042C4: D3D700A8 0EA3C5D2
	buffer_load_dwordx4 a[80:83], v39, s[24:27], 0 offen       // 0000000042CC: E05C1000 80865027
	v_mfma_i32_16x16x32_i8 v[168:171], a[212:213], v[228:229], v[168:171]// 0000000042D4: D3D700A8 0EA3C9D4
	v_mfma_i32_16x16x32_i8 v[168:171], a[214:215], v[230:231], v[168:171]// 0000000042DC: D3D700A8 0EA3CDD6
	v_mfma_i32_16x16x32_i8 v[168:171], a[216:217], v[232:233], v[168:171]// 0000000042E4: D3D700A8 0EA3D1D8
	v_mfma_i32_16x16x32_i8 v[168:171], a[218:219], v[234:235], v[168:171]// 0000000042EC: D3D700A8 0EA3D5DA
	buffer_load_dwordx4 a[84:87], v39, s[24:27], 0 offen offset:1024// 0000000042F4: E05C1400 80865427
	v_mfma_i32_16x16x32_i8 v[168:171], a[220:221], v[236:237], v[168:171]// 0000000042FC: D3D700A8 0EA3D9DC
	v_mfma_i32_16x16x32_i8 v[168:171], a[222:223], v[238:239], v[168:171]// 000000004304: D3D700A8 0EA3DDDE
	v_mfma_i32_16x16x32_i8 v[172:175], a[208:209], v[240:241], v[172:175]// 00000000430C: D3D700AC 0EB3E1D0
	v_mfma_i32_16x16x32_i8 v[172:175], a[210:211], v[242:243], v[172:175]// 000000004314: D3D700AC 0EB3E5D2
	buffer_load_dwordx4 a[88:91], v39, s[24:27], 0 offen offset:2048// 00000000431C: E05C1800 80865827
	v_mfma_i32_16x16x32_i8 v[172:175], a[212:213], v[244:245], v[172:175]// 000000004324: D3D700AC 0EB3E9D4
	v_mfma_i32_16x16x32_i8 v[172:175], a[214:215], v[246:247], v[172:175]// 00000000432C: D3D700AC 0EB3EDD6
	v_mfma_i32_16x16x32_i8 v[172:175], a[216:217], v[248:249], v[172:175]// 000000004334: D3D700AC 0EB3F1D8
	v_mfma_i32_16x16x32_i8 v[172:175], a[218:219], v[250:251], v[172:175]// 00000000433C: D3D700AC 0EB3F5DA
	buffer_load_dwordx4 a[92:95], v39, s[24:27], 0 offen offset:3072// 000000004344: E05C1C00 80865C27
	v_mfma_i32_16x16x32_i8 v[172:175], a[220:221], v[252:253], v[172:175]// 00000000434C: D3D700AC 0EB3F9DC
	v_mfma_i32_16x16x32_i8 v[172:175], a[222:223], v[254:255], v[172:175]// 000000004354: D3D700AC 0EB3FDDE
	s_waitcnt vmcnt(32)                                        // 00000000435C: BF8C8F70
	v_mfma_i32_16x16x32_i8 v[176:179], a[224:225], v[224:225], v[176:179]// 000000004360: D3D700B0 0EC3C1E0
	v_mfma_i32_16x16x32_i8 v[176:179], a[226:227], v[226:227], v[176:179]// 000000004368: D3D700B0 0EC3C5E2
	buffer_load_dwordx4 a[96:99], v40, s[24:27], 0 offen       // 000000004370: E05C1000 80866028
	v_mfma_i32_16x16x32_i8 v[176:179], a[228:229], v[228:229], v[176:179]// 000000004378: D3D700B0 0EC3C9E4
	v_mfma_i32_16x16x32_i8 v[176:179], a[230:231], v[230:231], v[176:179]// 000000004380: D3D700B0 0EC3CDE6
	v_mfma_i32_16x16x32_i8 v[176:179], a[232:233], v[232:233], v[176:179]// 000000004388: D3D700B0 0EC3D1E8
	v_mfma_i32_16x16x32_i8 v[176:179], a[234:235], v[234:235], v[176:179]// 000000004390: D3D700B0 0EC3D5EA
	buffer_load_dwordx4 a[100:103], v40, s[24:27], 0 offen offset:1024// 000000004398: E05C1400 80866428
	v_mfma_i32_16x16x32_i8 v[176:179], a[236:237], v[236:237], v[176:179]// 0000000043A0: D3D700B0 0EC3D9EC
	v_mfma_i32_16x16x32_i8 v[176:179], a[238:239], v[238:239], v[176:179]// 0000000043A8: D3D700B0 0EC3DDEE
	v_mfma_i32_16x16x32_i8 v[180:183], a[224:225], v[240:241], v[180:183]// 0000000043B0: D3D700B4 0ED3E1E0
	v_mfma_i32_16x16x32_i8 v[180:183], a[226:227], v[242:243], v[180:183]// 0000000043B8: D3D700B4 0ED3E5E2
	buffer_load_dwordx4 a[104:107], v40, s[24:27], 0 offen offset:2048// 0000000043C0: E05C1800 80866828
	v_mfma_i32_16x16x32_i8 v[180:183], a[228:229], v[244:245], v[180:183]// 0000000043C8: D3D700B4 0ED3E9E4
	v_mfma_i32_16x16x32_i8 v[180:183], a[230:231], v[246:247], v[180:183]// 0000000043D0: D3D700B4 0ED3EDE6
	v_mfma_i32_16x16x32_i8 v[180:183], a[232:233], v[248:249], v[180:183]// 0000000043D8: D3D700B4 0ED3F1E8
	v_mfma_i32_16x16x32_i8 v[180:183], a[234:235], v[250:251], v[180:183]// 0000000043E0: D3D700B4 0ED3F5EA
	buffer_load_dwordx4 a[108:111], v40, s[24:27], 0 offen offset:3072// 0000000043E8: E05C1C00 80866C28
	v_mfma_i32_16x16x32_i8 v[180:183], a[236:237], v[252:253], v[180:183]// 0000000043F0: D3D700B4 0ED3F9EC
	v_mfma_i32_16x16x32_i8 v[180:183], a[238:239], v[254:255], v[180:183]// 0000000043F8: D3D700B4 0ED3FDEE
	v_mfma_i32_16x16x32_i8 v[184:187], a[240:241], v[224:225], v[184:187]// 000000004400: D3D700B8 0EE3C1F0
	v_mfma_i32_16x16x32_i8 v[184:187], a[242:243], v[226:227], v[184:187]// 000000004408: D3D700B8 0EE3C5F2
	buffer_load_dwordx4 a[112:115], v41, s[24:27], 0 offen     // 000000004410: E05C1000 80867029
	v_mfma_i32_16x16x32_i8 v[184:187], a[244:245], v[228:229], v[184:187]// 000000004418: D3D700B8 0EE3C9F4
	v_mfma_i32_16x16x32_i8 v[184:187], a[246:247], v[230:231], v[184:187]// 000000004420: D3D700B8 0EE3CDF6
	v_mfma_i32_16x16x32_i8 v[184:187], a[248:249], v[232:233], v[184:187]// 000000004428: D3D700B8 0EE3D1F8
	v_mfma_i32_16x16x32_i8 v[184:187], a[250:251], v[234:235], v[184:187]// 000000004430: D3D700B8 0EE3D5FA
	buffer_load_dwordx4 a[116:119], v41, s[24:27], 0 offen offset:1024// 000000004438: E05C1400 80867429
	v_mfma_i32_16x16x32_i8 v[184:187], a[252:253], v[236:237], v[184:187]// 000000004440: D3D700B8 0EE3D9FC
	v_mfma_i32_16x16x32_i8 v[184:187], a[254:255], v[238:239], v[184:187]// 000000004448: D3D700B8 0EE3DDFE
	v_mfma_i32_16x16x32_i8 v[188:191], a[240:241], v[240:241], v[188:191]// 000000004450: D3D700BC 0EF3E1F0
	v_mfma_i32_16x16x32_i8 v[188:191], a[242:243], v[242:243], v[188:191]// 000000004458: D3D700BC 0EF3E5F2
	buffer_load_dwordx4 a[120:123], v41, s[24:27], 0 offen offset:2048// 000000004460: E05C1800 80867829
	v_mfma_i32_16x16x32_i8 v[188:191], a[244:245], v[244:245], v[188:191]// 000000004468: D3D700BC 0EF3E9F4
	v_mfma_i32_16x16x32_i8 v[188:191], a[246:247], v[246:247], v[188:191]// 000000004470: D3D700BC 0EF3EDF6
	v_mfma_i32_16x16x32_i8 v[188:191], a[248:249], v[248:249], v[188:191]// 000000004478: D3D700BC 0EF3F1F8
	v_mfma_i32_16x16x32_i8 v[188:191], a[250:251], v[250:251], v[188:191]// 000000004480: D3D700BC 0EF3F5FA
	buffer_load_dwordx4 a[124:127], v41, s[24:27], 0 offen offset:3072// 000000004488: E05C1C00 80867C29
	v_mfma_i32_16x16x32_i8 v[188:191], a[252:253], v[252:253], v[188:191]// 000000004490: D3D700BC 0EF3F9FC
	s_add_u32 s24, s58, s24                                    // 000000004498: 8018183A
	s_addc_u32 s25, 0, s25                                     // 00000000449C: 82191980
	v_mfma_i32_16x16x32_i8 v[188:191], a[254:255], v[254:255], v[188:191]// 0000000044A0: D3D700BC 0EF3FDFE
	s_addk_i32 s80, 0x100                                      // 0000000044A8: B7500100
	s_cmp_lt_i32 s80, s81                                      // 0000000044AC: BF045150
	s_cbranch_scc0 label_05AE                                  // 0000000044B0: BF840001
	s_branch label_02A7                                        // 0000000044B4: BF82FCF9

00000000000044b8 <label_05AE>:
	s_mov_b32 s20, 0                                           // 0000000044B8: BE940080
	s_cmp_lt_u32 s91, s66                                      // 0000000044BC: BF0A425B
	s_cselect_b32 s60, 0, 1                                    // 0000000044C0: 853C8180
	s_lshl1_add_u32 s20, s20, s60                              // 0000000044C4: 97143C14
	s_cmp_lt_u32 s90, s66                                      // 0000000044C8: BF0A425A
	s_cselect_b32 s60, 0, 1                                    // 0000000044CC: 853C8180
	s_lshl1_add_u32 s20, s20, s60                              // 0000000044D0: 97143C14
	s_cmp_lt_u32 s89, s66                                      // 0000000044D4: BF0A4259
	s_cselect_b32 s60, 0, 1                                    // 0000000044D8: 853C8180
	s_lshl1_add_u32 s20, s20, s60                              // 0000000044DC: 97143C14
	s_cmp_lt_u32 s88, s66                                      // 0000000044E0: BF0A4258
	s_cselect_b32 s60, 0, 1                                    // 0000000044E4: 853C8180
	s_lshl1_add_u32 s20, s20, s60                              // 0000000044E8: 97143C14
	s_cmp_lt_u32 s87, s66                                      // 0000000044EC: BF0A4257
	s_cselect_b32 s60, 0, 1                                    // 0000000044F0: 853C8180
	s_lshl1_add_u32 s20, s20, s60                              // 0000000044F4: 97143C14
	s_cmp_lt_u32 s86, s66                                      // 0000000044F8: BF0A4256
	s_cselect_b32 s60, 0, 1                                    // 0000000044FC: 853C8180
	s_lshl1_add_u32 s20, s20, s60                              // 000000004500: 97143C14
	s_cmp_lt_u32 s85, s66                                      // 000000004504: BF0A4255
	s_cselect_b32 s60, 0, 1                                    // 000000004508: 853C8180
	s_lshl1_add_u32 s20, s20, s60                              // 00000000450C: 97143C14
	s_cmp_lt_u32 s84, s66                                      // 000000004510: BF0A4254
	s_cselect_b32 s60, 0, 1                                    // 000000004514: 853C8180
	s_lshl1_add_u32 s20, s20, s60                              // 000000004518: 97143C14
	v_cvt_f32_i32_e32 v128, v128                               // 00000000451C: 7F000B80
	v_cvt_f32_i32_e32 v129, v129                               // 000000004520: 7F020B81
	v_cvt_f32_i32_e32 v130, v130                               // 000000004524: 7F040B82
	v_cvt_f32_i32_e32 v131, v131                               // 000000004528: 7F060B83
	v_mul_f32_e32 v128, v14, v128                              // 00000000452C: 0B01010E
	v_mul_f32_e32 v129, v14, v129                              // 000000004530: 0B03030E
	v_mul_f32_e32 v130, v14, v130                              // 000000004534: 0B05050E
	v_mul_f32_e32 v131, v14, v131                              // 000000004538: 0B07070E
	v_mul_f32_dpp v128, v16, v128 row_newbcast:0 row_mask:0xf bank_mask:0xf// 00000000453C: 0B0100FA FF015010
	v_mul_f32_dpp v129, v16, v129 row_newbcast:1 row_mask:0xf bank_mask:0xf// 000000004544: 0B0302FA FF015110
	v_mul_f32_dpp v130, v16, v130 row_newbcast:2 row_mask:0xf bank_mask:0xf// 00000000454C: 0B0504FA FF015210
	v_mul_f32_dpp v131, v16, v131 row_newbcast:3 row_mask:0xf bank_mask:0xf// 000000004554: 0B0706FA FF015310
	v_cvt_f32_i32_e32 v132, v132                               // 00000000455C: 7F080B84
	v_cvt_f32_i32_e32 v133, v133                               // 000000004560: 7F0A0B85
	v_cvt_f32_i32_e32 v134, v134                               // 000000004564: 7F0C0B86
	v_cvt_f32_i32_e32 v135, v135                               // 000000004568: 7F0E0B87
	v_mul_f32_e32 v132, v15, v132                              // 00000000456C: 0B09090F
	v_mul_f32_e32 v133, v15, v133                              // 000000004570: 0B0B0B0F
	v_mul_f32_e32 v134, v15, v134                              // 000000004574: 0B0D0D0F
	v_mul_f32_e32 v135, v15, v135                              // 000000004578: 0B0F0F0F
	v_mul_f32_dpp v132, v16, v132 row_newbcast:0 row_mask:0xf bank_mask:0xf// 00000000457C: 0B0908FA FF015010
	v_mul_f32_dpp v133, v16, v133 row_newbcast:1 row_mask:0xf bank_mask:0xf// 000000004584: 0B0B0AFA FF015110
	v_mul_f32_dpp v134, v16, v134 row_newbcast:2 row_mask:0xf bank_mask:0xf// 00000000458C: 0B0D0CFA FF015210
	v_mul_f32_dpp v135, v16, v135 row_newbcast:3 row_mask:0xf bank_mask:0xf// 000000004594: 0B0F0EFA FF015310
	v_cvt_f32_i32_e32 v136, v136                               // 00000000459C: 7F100B88
	v_cvt_f32_i32_e32 v137, v137                               // 0000000045A0: 7F120B89
	v_cvt_f32_i32_e32 v138, v138                               // 0000000045A4: 7F140B8A
	v_cvt_f32_i32_e32 v139, v139                               // 0000000045A8: 7F160B8B
	v_mul_f32_e32 v136, v14, v136                              // 0000000045AC: 0B11110E
	v_mul_f32_e32 v137, v14, v137                              // 0000000045B0: 0B13130E
	v_mul_f32_e32 v138, v14, v138                              // 0000000045B4: 0B15150E
	v_mul_f32_e32 v139, v14, v139                              // 0000000045B8: 0B17170E
	v_mul_f32_dpp v136, v16, v136 row_newbcast:4 row_mask:0xf bank_mask:0xf// 0000000045BC: 0B1110FA FF015410
	v_mul_f32_dpp v137, v16, v137 row_newbcast:5 row_mask:0xf bank_mask:0xf// 0000000045C4: 0B1312FA FF015510
	v_mul_f32_dpp v138, v16, v138 row_newbcast:6 row_mask:0xf bank_mask:0xf// 0000000045CC: 0B1514FA FF015610
	v_mul_f32_dpp v139, v16, v139 row_newbcast:7 row_mask:0xf bank_mask:0xf// 0000000045D4: 0B1716FA FF015710
	v_cvt_f32_i32_e32 v140, v140                               // 0000000045DC: 7F180B8C
	v_cvt_f32_i32_e32 v141, v141                               // 0000000045E0: 7F1A0B8D
	v_cvt_f32_i32_e32 v142, v142                               // 0000000045E4: 7F1C0B8E
	v_cvt_f32_i32_e32 v143, v143                               // 0000000045E8: 7F1E0B8F
	v_mul_f32_e32 v140, v15, v140                              // 0000000045EC: 0B19190F
	v_mul_f32_e32 v141, v15, v141                              // 0000000045F0: 0B1B1B0F
	v_mul_f32_e32 v142, v15, v142                              // 0000000045F4: 0B1D1D0F
	v_mul_f32_e32 v143, v15, v143                              // 0000000045F8: 0B1F1F0F
	v_mul_f32_dpp v140, v16, v140 row_newbcast:4 row_mask:0xf bank_mask:0xf// 0000000045FC: 0B1918FA FF015410
	v_mul_f32_dpp v141, v16, v141 row_newbcast:5 row_mask:0xf bank_mask:0xf// 000000004604: 0B1B1AFA FF015510
	v_mul_f32_dpp v142, v16, v142 row_newbcast:6 row_mask:0xf bank_mask:0xf// 00000000460C: 0B1D1CFA FF015610
	v_mul_f32_dpp v143, v16, v143 row_newbcast:7 row_mask:0xf bank_mask:0xf// 000000004614: 0B1F1EFA FF015710
	v_cvt_f32_i32_e32 v144, v144                               // 00000000461C: 7F200B90
	v_cvt_f32_i32_e32 v145, v145                               // 000000004620: 7F220B91
	v_cvt_f32_i32_e32 v146, v146                               // 000000004624: 7F240B92
	v_cvt_f32_i32_e32 v147, v147                               // 000000004628: 7F260B93
	v_mul_f32_e32 v144, v14, v144                              // 00000000462C: 0B21210E
	v_mul_f32_e32 v145, v14, v145                              // 000000004630: 0B23230E
	v_mul_f32_e32 v146, v14, v146                              // 000000004634: 0B25250E
	v_mul_f32_e32 v147, v14, v147                              // 000000004638: 0B27270E
	v_mul_f32_dpp v144, v16, v144 row_newbcast:8 row_mask:0xf bank_mask:0xf// 00000000463C: 0B2120FA FF015810
	v_mul_f32_dpp v145, v16, v145 row_newbcast:9 row_mask:0xf bank_mask:0xf// 000000004644: 0B2322FA FF015910
	v_mul_f32_dpp v146, v16, v146 row_newbcast:10 row_mask:0xf bank_mask:0xf// 00000000464C: 0B2524FA FF015A10
	v_mul_f32_dpp v147, v16, v147 row_newbcast:11 row_mask:0xf bank_mask:0xf// 000000004654: 0B2726FA FF015B10
	v_cvt_f32_i32_e32 v148, v148                               // 00000000465C: 7F280B94
	v_cvt_f32_i32_e32 v149, v149                               // 000000004660: 7F2A0B95
	v_cvt_f32_i32_e32 v150, v150                               // 000000004664: 7F2C0B96
	v_cvt_f32_i32_e32 v151, v151                               // 000000004668: 7F2E0B97
	v_mul_f32_e32 v148, v15, v148                              // 00000000466C: 0B29290F
	v_mul_f32_e32 v149, v15, v149                              // 000000004670: 0B2B2B0F
	v_mul_f32_e32 v150, v15, v150                              // 000000004674: 0B2D2D0F
	v_mul_f32_e32 v151, v15, v151                              // 000000004678: 0B2F2F0F
	v_mul_f32_dpp v148, v16, v148 row_newbcast:8 row_mask:0xf bank_mask:0xf// 00000000467C: 0B2928FA FF015810
	v_mul_f32_dpp v149, v16, v149 row_newbcast:9 row_mask:0xf bank_mask:0xf// 000000004684: 0B2B2AFA FF015910
	v_mul_f32_dpp v150, v16, v150 row_newbcast:10 row_mask:0xf bank_mask:0xf// 00000000468C: 0B2D2CFA FF015A10
	v_mul_f32_dpp v151, v16, v151 row_newbcast:11 row_mask:0xf bank_mask:0xf// 000000004694: 0B2F2EFA FF015B10
	v_cvt_f32_i32_e32 v152, v152                               // 00000000469C: 7F300B98
	v_cvt_f32_i32_e32 v153, v153                               // 0000000046A0: 7F320B99
	v_cvt_f32_i32_e32 v154, v154                               // 0000000046A4: 7F340B9A
	v_cvt_f32_i32_e32 v155, v155                               // 0000000046A8: 7F360B9B
	v_mul_f32_e32 v152, v14, v152                              // 0000000046AC: 0B31310E
	v_mul_f32_e32 v153, v14, v153                              // 0000000046B0: 0B33330E
	v_mul_f32_e32 v154, v14, v154                              // 0000000046B4: 0B35350E
	v_mul_f32_e32 v155, v14, v155                              // 0000000046B8: 0B37370E
	v_mul_f32_dpp v152, v16, v152 row_newbcast:12 row_mask:0xf bank_mask:0xf// 0000000046BC: 0B3130FA FF015C10
	v_mul_f32_dpp v153, v16, v153 row_newbcast:13 row_mask:0xf bank_mask:0xf// 0000000046C4: 0B3332FA FF015D10
	v_mul_f32_dpp v154, v16, v154 row_newbcast:14 row_mask:0xf bank_mask:0xf// 0000000046CC: 0B3534FA FF015E10
	v_mul_f32_dpp v155, v16, v155 row_newbcast:15 row_mask:0xf bank_mask:0xf// 0000000046D4: 0B3736FA FF015F10
	v_cvt_f32_i32_e32 v156, v156                               // 0000000046DC: 7F380B9C
	v_cvt_f32_i32_e32 v157, v157                               // 0000000046E0: 7F3A0B9D
	v_cvt_f32_i32_e32 v158, v158                               // 0000000046E4: 7F3C0B9E
	v_cvt_f32_i32_e32 v159, v159                               // 0000000046E8: 7F3E0B9F
	v_mul_f32_e32 v156, v15, v156                              // 0000000046EC: 0B39390F
	v_mul_f32_e32 v157, v15, v157                              // 0000000046F0: 0B3B3B0F
	v_mul_f32_e32 v158, v15, v158                              // 0000000046F4: 0B3D3D0F
	v_mul_f32_e32 v159, v15, v159                              // 0000000046F8: 0B3F3F0F
	v_mul_f32_dpp v156, v16, v156 row_newbcast:12 row_mask:0xf bank_mask:0xf// 0000000046FC: 0B3938FA FF015C10
	v_mul_f32_dpp v157, v16, v157 row_newbcast:13 row_mask:0xf bank_mask:0xf// 000000004704: 0B3B3AFA FF015D10
	v_mul_f32_dpp v158, v16, v158 row_newbcast:14 row_mask:0xf bank_mask:0xf// 00000000470C: 0B3D3CFA FF015E10
	v_mul_f32_dpp v159, v16, v159 row_newbcast:15 row_mask:0xf bank_mask:0xf// 000000004714: 0B3F3EFA FF015F10
	v_cvt_f32_i32_e32 v160, v160                               // 00000000471C: 7F400BA0
	v_cvt_f32_i32_e32 v161, v161                               // 000000004720: 7F420BA1
	v_cvt_f32_i32_e32 v162, v162                               // 000000004724: 7F440BA2
	v_cvt_f32_i32_e32 v163, v163                               // 000000004728: 7F460BA3
	v_mul_f32_e32 v160, v14, v160                              // 00000000472C: 0B41410E
	v_mul_f32_e32 v161, v14, v161                              // 000000004730: 0B43430E
	v_mul_f32_e32 v162, v14, v162                              // 000000004734: 0B45450E
	v_mul_f32_e32 v163, v14, v163                              // 000000004738: 0B47470E
	v_mul_f32_dpp v160, v17, v160 row_newbcast:0 row_mask:0xf bank_mask:0xf// 00000000473C: 0B4140FA FF015011
	v_mul_f32_dpp v161, v17, v161 row_newbcast:1 row_mask:0xf bank_mask:0xf// 000000004744: 0B4342FA FF015111
	v_mul_f32_dpp v162, v17, v162 row_newbcast:2 row_mask:0xf bank_mask:0xf// 00000000474C: 0B4544FA FF015211
	v_mul_f32_dpp v163, v17, v163 row_newbcast:3 row_mask:0xf bank_mask:0xf// 000000004754: 0B4746FA FF015311
	v_cvt_f32_i32_e32 v164, v164                               // 00000000475C: 7F480BA4
	v_cvt_f32_i32_e32 v165, v165                               // 000000004760: 7F4A0BA5
	v_cvt_f32_i32_e32 v166, v166                               // 000000004764: 7F4C0BA6
	v_cvt_f32_i32_e32 v167, v167                               // 000000004768: 7F4E0BA7
	v_mul_f32_e32 v164, v15, v164                              // 00000000476C: 0B49490F
	v_mul_f32_e32 v165, v15, v165                              // 000000004770: 0B4B4B0F
	v_mul_f32_e32 v166, v15, v166                              // 000000004774: 0B4D4D0F
	v_mul_f32_e32 v167, v15, v167                              // 000000004778: 0B4F4F0F
	v_mul_f32_dpp v164, v17, v164 row_newbcast:0 row_mask:0xf bank_mask:0xf// 00000000477C: 0B4948FA FF015011
	v_mul_f32_dpp v165, v17, v165 row_newbcast:1 row_mask:0xf bank_mask:0xf// 000000004784: 0B4B4AFA FF015111
	v_mul_f32_dpp v166, v17, v166 row_newbcast:2 row_mask:0xf bank_mask:0xf// 00000000478C: 0B4D4CFA FF015211
	v_mul_f32_dpp v167, v17, v167 row_newbcast:3 row_mask:0xf bank_mask:0xf// 000000004794: 0B4F4EFA FF015311
	v_cvt_f32_i32_e32 v168, v168                               // 00000000479C: 7F500BA8
	v_cvt_f32_i32_e32 v169, v169                               // 0000000047A0: 7F520BA9
	v_cvt_f32_i32_e32 v170, v170                               // 0000000047A4: 7F540BAA
	v_cvt_f32_i32_e32 v171, v171                               // 0000000047A8: 7F560BAB
	v_mul_f32_e32 v168, v14, v168                              // 0000000047AC: 0B51510E
	v_mul_f32_e32 v169, v14, v169                              // 0000000047B0: 0B53530E
	v_mul_f32_e32 v170, v14, v170                              // 0000000047B4: 0B55550E
	v_mul_f32_e32 v171, v14, v171                              // 0000000047B8: 0B57570E
	v_mul_f32_dpp v168, v17, v168 row_newbcast:4 row_mask:0xf bank_mask:0xf// 0000000047BC: 0B5150FA FF015411
	v_mul_f32_dpp v169, v17, v169 row_newbcast:5 row_mask:0xf bank_mask:0xf// 0000000047C4: 0B5352FA FF015511
	v_mul_f32_dpp v170, v17, v170 row_newbcast:6 row_mask:0xf bank_mask:0xf// 0000000047CC: 0B5554FA FF015611
	v_mul_f32_dpp v171, v17, v171 row_newbcast:7 row_mask:0xf bank_mask:0xf// 0000000047D4: 0B5756FA FF015711
	v_cvt_f32_i32_e32 v172, v172                               // 0000000047DC: 7F580BAC
	v_cvt_f32_i32_e32 v173, v173                               // 0000000047E0: 7F5A0BAD
	v_cvt_f32_i32_e32 v174, v174                               // 0000000047E4: 7F5C0BAE
	v_cvt_f32_i32_e32 v175, v175                               // 0000000047E8: 7F5E0BAF
	v_mul_f32_e32 v172, v15, v172                              // 0000000047EC: 0B59590F
	v_mul_f32_e32 v173, v15, v173                              // 0000000047F0: 0B5B5B0F
	v_mul_f32_e32 v174, v15, v174                              // 0000000047F4: 0B5D5D0F
	v_mul_f32_e32 v175, v15, v175                              // 0000000047F8: 0B5F5F0F
	v_mul_f32_dpp v172, v17, v172 row_newbcast:4 row_mask:0xf bank_mask:0xf// 0000000047FC: 0B5958FA FF015411
	v_mul_f32_dpp v173, v17, v173 row_newbcast:5 row_mask:0xf bank_mask:0xf// 000000004804: 0B5B5AFA FF015511
	v_mul_f32_dpp v174, v17, v174 row_newbcast:6 row_mask:0xf bank_mask:0xf// 00000000480C: 0B5D5CFA FF015611
	v_mul_f32_dpp v175, v17, v175 row_newbcast:7 row_mask:0xf bank_mask:0xf// 000000004814: 0B5F5EFA FF015711
	v_cvt_f32_i32_e32 v176, v176                               // 00000000481C: 7F600BB0
	v_cvt_f32_i32_e32 v177, v177                               // 000000004820: 7F620BB1
	v_cvt_f32_i32_e32 v178, v178                               // 000000004824: 7F640BB2
	v_cvt_f32_i32_e32 v179, v179                               // 000000004828: 7F660BB3
	v_mul_f32_e32 v176, v14, v176                              // 00000000482C: 0B61610E
	v_mul_f32_e32 v177, v14, v177                              // 000000004830: 0B63630E
	v_mul_f32_e32 v178, v14, v178                              // 000000004834: 0B65650E
	v_mul_f32_e32 v179, v14, v179                              // 000000004838: 0B67670E
	v_mul_f32_dpp v176, v17, v176 row_newbcast:8 row_mask:0xf bank_mask:0xf// 00000000483C: 0B6160FA FF015811
	v_mul_f32_dpp v177, v17, v177 row_newbcast:9 row_mask:0xf bank_mask:0xf// 000000004844: 0B6362FA FF015911
	v_mul_f32_dpp v178, v17, v178 row_newbcast:10 row_mask:0xf bank_mask:0xf// 00000000484C: 0B6564FA FF015A11
	v_mul_f32_dpp v179, v17, v179 row_newbcast:11 row_mask:0xf bank_mask:0xf// 000000004854: 0B6766FA FF015B11
	v_cvt_f32_i32_e32 v180, v180                               // 00000000485C: 7F680BB4
	v_cvt_f32_i32_e32 v181, v181                               // 000000004860: 7F6A0BB5
	v_cvt_f32_i32_e32 v182, v182                               // 000000004864: 7F6C0BB6
	v_cvt_f32_i32_e32 v183, v183                               // 000000004868: 7F6E0BB7
	v_mul_f32_e32 v180, v15, v180                              // 00000000486C: 0B69690F
	v_mul_f32_e32 v181, v15, v181                              // 000000004870: 0B6B6B0F
	v_mul_f32_e32 v182, v15, v182                              // 000000004874: 0B6D6D0F
	v_mul_f32_e32 v183, v15, v183                              // 000000004878: 0B6F6F0F
	v_mul_f32_dpp v180, v17, v180 row_newbcast:8 row_mask:0xf bank_mask:0xf// 00000000487C: 0B6968FA FF015811
	v_mul_f32_dpp v181, v17, v181 row_newbcast:9 row_mask:0xf bank_mask:0xf// 000000004884: 0B6B6AFA FF015911
	v_mul_f32_dpp v182, v17, v182 row_newbcast:10 row_mask:0xf bank_mask:0xf// 00000000488C: 0B6D6CFA FF015A11
	v_mul_f32_dpp v183, v17, v183 row_newbcast:11 row_mask:0xf bank_mask:0xf// 000000004894: 0B6F6EFA FF015B11
	v_cvt_f32_i32_e32 v184, v184                               // 00000000489C: 7F700BB8
	v_cvt_f32_i32_e32 v185, v185                               // 0000000048A0: 7F720BB9
	v_cvt_f32_i32_e32 v186, v186                               // 0000000048A4: 7F740BBA
	v_cvt_f32_i32_e32 v187, v187                               // 0000000048A8: 7F760BBB
	v_mul_f32_e32 v184, v14, v184                              // 0000000048AC: 0B71710E
	v_mul_f32_e32 v185, v14, v185                              // 0000000048B0: 0B73730E
	v_mul_f32_e32 v186, v14, v186                              // 0000000048B4: 0B75750E
	v_mul_f32_e32 v187, v14, v187                              // 0000000048B8: 0B77770E
	v_mul_f32_dpp v184, v17, v184 row_newbcast:12 row_mask:0xf bank_mask:0xf// 0000000048BC: 0B7170FA FF015C11
	v_mul_f32_dpp v185, v17, v185 row_newbcast:13 row_mask:0xf bank_mask:0xf// 0000000048C4: 0B7372FA FF015D11
	v_mul_f32_dpp v186, v17, v186 row_newbcast:14 row_mask:0xf bank_mask:0xf// 0000000048CC: 0B7574FA FF015E11
	v_mul_f32_dpp v187, v17, v187 row_newbcast:15 row_mask:0xf bank_mask:0xf// 0000000048D4: 0B7776FA FF015F11
	v_cvt_f32_i32_e32 v188, v188                               // 0000000048DC: 7F780BBC
	v_cvt_f32_i32_e32 v189, v189                               // 0000000048E0: 7F7A0BBD
	v_cvt_f32_i32_e32 v190, v190                               // 0000000048E4: 7F7C0BBE
	v_cvt_f32_i32_e32 v191, v191                               // 0000000048E8: 7F7E0BBF
	v_mul_f32_e32 v188, v15, v188                              // 0000000048EC: 0B79790F
	v_mul_f32_e32 v189, v15, v189                              // 0000000048F0: 0B7B7B0F
	v_mul_f32_e32 v190, v15, v190                              // 0000000048F4: 0B7D7D0F
	v_mul_f32_e32 v191, v15, v191                              // 0000000048F8: 0B7F7F0F
	v_mul_f32_dpp v188, v17, v188 row_newbcast:12 row_mask:0xf bank_mask:0xf// 0000000048FC: 0B7978FA FF015C11
	v_mul_f32_dpp v189, v17, v189 row_newbcast:13 row_mask:0xf bank_mask:0xf// 000000004904: 0B7B7AFA FF015D11
	v_mul_f32_dpp v190, v17, v190 row_newbcast:14 row_mask:0xf bank_mask:0xf// 00000000490C: 0B7D7CFA FF015E11
	v_mul_f32_dpp v191, v17, v191 row_newbcast:15 row_mask:0xf bank_mask:0xf// 000000004914: 0B7F7EFA FF015F11
	s_waitcnt vmcnt(24)                                        // 00000000491C: BF8C4F78
	buffer_load_dwordx4 a[0:3], v42, s[12:15], 0 offen         // 000000004920: E05C1000 8083002A
	v_mul_f32_e64 v54, -v128, s6                               // 000000004928: D1050036 20000D80
	v_mul_f32_e64 v55, -v129, s6                               // 000000004930: D1050037 20000D81
	v_mul_f32_e64 v56, -v130, s6                               // 000000004938: D1050038 20000D82
	v_mul_f32_e64 v57, -v131, s6                               // 000000004940: D1050039 20000D83
	v_exp_f32_e32 v54, v54                                     // 000000004948: 7E6C4136
	v_exp_f32_e32 v55, v55                                     // 00000000494C: 7E6E4137
	v_exp_f32_e32 v56, v56                                     // 000000004950: 7E704138
	v_exp_f32_e32 v57, v57                                     // 000000004954: 7E724139
	buffer_load_dwordx4 a[4:7], v42, s[12:15], 0 offen offset:1024// 000000004958: E05C1400 8083042A
	v_add_f32_e64 v54, v54, 1.0                                // 000000004960: D1010036 0001E536
	v_add_f32_e64 v55, v55, 1.0                                // 000000004968: D1010037 0001E537
	v_add_f32_e64 v56, v56, 1.0                                // 000000004970: D1010038 0001E538
	v_add_f32_e64 v57, v57, 1.0                                // 000000004978: D1010039 0001E539
	v_rcp_f32_e32 v54, v54                                     // 000000004980: 7E6C4536
	v_rcp_f32_e32 v55, v55                                     // 000000004984: 7E6E4537
	v_rcp_f32_e32 v56, v56                                     // 000000004988: 7E704538
	v_rcp_f32_e32 v57, v57                                     // 00000000498C: 7E724539
	v_pk_mul_f32 v[128:129], v[128:129], v[54:55]              // 000000004990: D3B14080 18026D80
	v_pk_mul_f32 v[130:131], v[130:131], v[56:57]              // 000000004998: D3B14082 18027182
	buffer_load_dwordx4 a[8:11], v42, s[12:15], 0 offen offset:2048// 0000000049A0: E05C1800 8083082A
	v_mul_f32_e64 v54, -v132, s6                               // 0000000049A8: D1050036 20000D84
	v_mul_f32_e64 v55, -v133, s6                               // 0000000049B0: D1050037 20000D85
	v_mul_f32_e64 v56, -v134, s6                               // 0000000049B8: D1050038 20000D86
	v_mul_f32_e64 v57, -v135, s6                               // 0000000049C0: D1050039 20000D87
	v_exp_f32_e32 v54, v54                                     // 0000000049C8: 7E6C4136
	v_exp_f32_e32 v55, v55                                     // 0000000049CC: 7E6E4137
	v_exp_f32_e32 v56, v56                                     // 0000000049D0: 7E704138
	v_exp_f32_e32 v57, v57                                     // 0000000049D4: 7E724139
	buffer_load_dwordx4 a[12:15], v42, s[12:15], 0 offen offset:3072// 0000000049D8: E05C1C00 80830C2A
	v_add_f32_e64 v54, v54, 1.0                                // 0000000049E0: D1010036 0001E536
	v_add_f32_e64 v55, v55, 1.0                                // 0000000049E8: D1010037 0001E537
	v_add_f32_e64 v56, v56, 1.0                                // 0000000049F0: D1010038 0001E538
	v_add_f32_e64 v57, v57, 1.0                                // 0000000049F8: D1010039 0001E539
	v_rcp_f32_e32 v54, v54                                     // 000000004A00: 7E6C4536
	v_rcp_f32_e32 v55, v55                                     // 000000004A04: 7E6E4537
	v_rcp_f32_e32 v56, v56                                     // 000000004A08: 7E704538
	v_rcp_f32_e32 v57, v57                                     // 000000004A0C: 7E724539
	v_pk_mul_f32 v[132:133], v[132:133], v[54:55]              // 000000004A10: D3B14084 18026D84
	v_pk_mul_f32 v[134:135], v[134:135], v[56:57]              // 000000004A18: D3B14086 18027186
	buffer_load_dwordx4 a[16:19], v43, s[12:15], 0 offen       // 000000004A20: E05C1000 8083102B
	v_mul_f32_e64 v54, -v136, s6                               // 000000004A28: D1050036 20000D88
	v_mul_f32_e64 v55, -v137, s6                               // 000000004A30: D1050037 20000D89
	v_mul_f32_e64 v56, -v138, s6                               // 000000004A38: D1050038 20000D8A
	v_mul_f32_e64 v57, -v139, s6                               // 000000004A40: D1050039 20000D8B
	v_exp_f32_e32 v54, v54                                     // 000000004A48: 7E6C4136
	v_exp_f32_e32 v55, v55                                     // 000000004A4C: 7E6E4137
	v_exp_f32_e32 v56, v56                                     // 000000004A50: 7E704138
	v_exp_f32_e32 v57, v57                                     // 000000004A54: 7E724139
	buffer_load_dwordx4 a[20:23], v43, s[12:15], 0 offen offset:1024// 000000004A58: E05C1400 8083142B
	v_add_f32_e64 v54, v54, 1.0                                // 000000004A60: D1010036 0001E536
	v_add_f32_e64 v55, v55, 1.0                                // 000000004A68: D1010037 0001E537
	v_add_f32_e64 v56, v56, 1.0                                // 000000004A70: D1010038 0001E538
	v_add_f32_e64 v57, v57, 1.0                                // 000000004A78: D1010039 0001E539
	v_rcp_f32_e32 v54, v54                                     // 000000004A80: 7E6C4536
	v_rcp_f32_e32 v55, v55                                     // 000000004A84: 7E6E4537
	v_rcp_f32_e32 v56, v56                                     // 000000004A88: 7E704538
	v_rcp_f32_e32 v57, v57                                     // 000000004A8C: 7E724539
	v_pk_mul_f32 v[136:137], v[136:137], v[54:55]              // 000000004A90: D3B14088 18026D88
	v_pk_mul_f32 v[138:139], v[138:139], v[56:57]              // 000000004A98: D3B1408A 1802718A
	buffer_load_dwordx4 a[24:27], v43, s[12:15], 0 offen offset:2048// 000000004AA0: E05C1800 8083182B
	v_mul_f32_e64 v54, -v140, s6                               // 000000004AA8: D1050036 20000D8C
	v_mul_f32_e64 v55, -v141, s6                               // 000000004AB0: D1050037 20000D8D
	v_mul_f32_e64 v56, -v142, s6                               // 000000004AB8: D1050038 20000D8E
	v_mul_f32_e64 v57, -v143, s6                               // 000000004AC0: D1050039 20000D8F
	v_exp_f32_e32 v54, v54                                     // 000000004AC8: 7E6C4136
	v_exp_f32_e32 v55, v55                                     // 000000004ACC: 7E6E4137
	v_exp_f32_e32 v56, v56                                     // 000000004AD0: 7E704138
	v_exp_f32_e32 v57, v57                                     // 000000004AD4: 7E724139
	buffer_load_dwordx4 a[28:31], v43, s[12:15], 0 offen offset:3072// 000000004AD8: E05C1C00 80831C2B
	v_add_f32_e64 v54, v54, 1.0                                // 000000004AE0: D1010036 0001E536
	v_add_f32_e64 v55, v55, 1.0                                // 000000004AE8: D1010037 0001E537
	v_add_f32_e64 v56, v56, 1.0                                // 000000004AF0: D1010038 0001E538
	v_add_f32_e64 v57, v57, 1.0                                // 000000004AF8: D1010039 0001E539
	v_rcp_f32_e32 v54, v54                                     // 000000004B00: 7E6C4536
	v_rcp_f32_e32 v55, v55                                     // 000000004B04: 7E6E4537
	v_rcp_f32_e32 v56, v56                                     // 000000004B08: 7E704538
	v_rcp_f32_e32 v57, v57                                     // 000000004B0C: 7E724539
	v_pk_mul_f32 v[140:141], v[140:141], v[54:55]              // 000000004B10: D3B1408C 18026D8C
	v_pk_mul_f32 v[142:143], v[142:143], v[56:57]              // 000000004B18: D3B1408E 1802718E
	s_waitcnt vmcnt(24)                                        // 000000004B20: BF8C4F78
	buffer_load_dwordx4 a[32:35], v44, s[12:15], 0 offen       // 000000004B24: E05C1000 8083202C
	v_mul_f32_e64 v54, -v144, s6                               // 000000004B2C: D1050036 20000D90
	v_mul_f32_e64 v55, -v145, s6                               // 000000004B34: D1050037 20000D91
	v_mul_f32_e64 v56, -v146, s6                               // 000000004B3C: D1050038 20000D92
	v_mul_f32_e64 v57, -v147, s6                               // 000000004B44: D1050039 20000D93
	v_exp_f32_e32 v54, v54                                     // 000000004B4C: 7E6C4136
	v_exp_f32_e32 v55, v55                                     // 000000004B50: 7E6E4137
	v_exp_f32_e32 v56, v56                                     // 000000004B54: 7E704138
	v_exp_f32_e32 v57, v57                                     // 000000004B58: 7E724139
	buffer_load_dwordx4 a[36:39], v44, s[12:15], 0 offen offset:1024// 000000004B5C: E05C1400 8083242C
	v_add_f32_e64 v54, v54, 1.0                                // 000000004B64: D1010036 0001E536
	v_add_f32_e64 v55, v55, 1.0                                // 000000004B6C: D1010037 0001E537
	v_add_f32_e64 v56, v56, 1.0                                // 000000004B74: D1010038 0001E538
	v_add_f32_e64 v57, v57, 1.0                                // 000000004B7C: D1010039 0001E539
	v_rcp_f32_e32 v54, v54                                     // 000000004B84: 7E6C4536
	v_rcp_f32_e32 v55, v55                                     // 000000004B88: 7E6E4537
	v_rcp_f32_e32 v56, v56                                     // 000000004B8C: 7E704538
	v_rcp_f32_e32 v57, v57                                     // 000000004B90: 7E724539
	v_pk_mul_f32 v[144:145], v[144:145], v[54:55]              // 000000004B94: D3B14090 18026D90
	v_pk_mul_f32 v[146:147], v[146:147], v[56:57]              // 000000004B9C: D3B14092 18027192
	buffer_load_dwordx4 a[40:43], v44, s[12:15], 0 offen offset:2048// 000000004BA4: E05C1800 8083282C
	v_mul_f32_e64 v54, -v148, s6                               // 000000004BAC: D1050036 20000D94
	v_mul_f32_e64 v55, -v149, s6                               // 000000004BB4: D1050037 20000D95
	v_mul_f32_e64 v56, -v150, s6                               // 000000004BBC: D1050038 20000D96
	v_mul_f32_e64 v57, -v151, s6                               // 000000004BC4: D1050039 20000D97
	v_exp_f32_e32 v54, v54                                     // 000000004BCC: 7E6C4136
	v_exp_f32_e32 v55, v55                                     // 000000004BD0: 7E6E4137
	v_exp_f32_e32 v56, v56                                     // 000000004BD4: 7E704138
	v_exp_f32_e32 v57, v57                                     // 000000004BD8: 7E724139
	buffer_load_dwordx4 a[44:47], v44, s[12:15], 0 offen offset:3072// 000000004BDC: E05C1C00 80832C2C
	v_add_f32_e64 v54, v54, 1.0                                // 000000004BE4: D1010036 0001E536
	v_add_f32_e64 v55, v55, 1.0                                // 000000004BEC: D1010037 0001E537
	v_add_f32_e64 v56, v56, 1.0                                // 000000004BF4: D1010038 0001E538
	v_add_f32_e64 v57, v57, 1.0                                // 000000004BFC: D1010039 0001E539
	v_rcp_f32_e32 v54, v54                                     // 000000004C04: 7E6C4536
	v_rcp_f32_e32 v55, v55                                     // 000000004C08: 7E6E4537
	v_rcp_f32_e32 v56, v56                                     // 000000004C0C: 7E704538
	v_rcp_f32_e32 v57, v57                                     // 000000004C10: 7E724539
	v_pk_mul_f32 v[148:149], v[148:149], v[54:55]              // 000000004C14: D3B14094 18026D94
	v_pk_mul_f32 v[150:151], v[150:151], v[56:57]              // 000000004C1C: D3B14096 18027196
	buffer_load_dwordx4 a[48:51], v45, s[12:15], 0 offen       // 000000004C24: E05C1000 8083302D
	v_mul_f32_e64 v54, -v152, s6                               // 000000004C2C: D1050036 20000D98
	v_mul_f32_e64 v55, -v153, s6                               // 000000004C34: D1050037 20000D99
	v_mul_f32_e64 v56, -v154, s6                               // 000000004C3C: D1050038 20000D9A
	v_mul_f32_e64 v57, -v155, s6                               // 000000004C44: D1050039 20000D9B
	v_exp_f32_e32 v54, v54                                     // 000000004C4C: 7E6C4136
	v_exp_f32_e32 v55, v55                                     // 000000004C50: 7E6E4137
	v_exp_f32_e32 v56, v56                                     // 000000004C54: 7E704138
	v_exp_f32_e32 v57, v57                                     // 000000004C58: 7E724139
	buffer_load_dwordx4 a[52:55], v45, s[12:15], 0 offen offset:1024// 000000004C5C: E05C1400 8083342D
	v_add_f32_e64 v54, v54, 1.0                                // 000000004C64: D1010036 0001E536
	v_add_f32_e64 v55, v55, 1.0                                // 000000004C6C: D1010037 0001E537
	v_add_f32_e64 v56, v56, 1.0                                // 000000004C74: D1010038 0001E538
	v_add_f32_e64 v57, v57, 1.0                                // 000000004C7C: D1010039 0001E539
	v_rcp_f32_e32 v54, v54                                     // 000000004C84: 7E6C4536
	v_rcp_f32_e32 v55, v55                                     // 000000004C88: 7E6E4537
	v_rcp_f32_e32 v56, v56                                     // 000000004C8C: 7E704538
	v_rcp_f32_e32 v57, v57                                     // 000000004C90: 7E724539
	v_pk_mul_f32 v[152:153], v[152:153], v[54:55]              // 000000004C94: D3B14098 18026D98
	v_pk_mul_f32 v[154:155], v[154:155], v[56:57]              // 000000004C9C: D3B1409A 1802719A
	buffer_load_dwordx4 a[56:59], v45, s[12:15], 0 offen offset:2048// 000000004CA4: E05C1800 8083382D
	v_mul_f32_e64 v54, -v156, s6                               // 000000004CAC: D1050036 20000D9C
	v_mul_f32_e64 v55, -v157, s6                               // 000000004CB4: D1050037 20000D9D
	v_mul_f32_e64 v56, -v158, s6                               // 000000004CBC: D1050038 20000D9E
	v_mul_f32_e64 v57, -v159, s6                               // 000000004CC4: D1050039 20000D9F
	v_exp_f32_e32 v54, v54                                     // 000000004CCC: 7E6C4136
	v_exp_f32_e32 v55, v55                                     // 000000004CD0: 7E6E4137
	v_exp_f32_e32 v56, v56                                     // 000000004CD4: 7E704138
	v_exp_f32_e32 v57, v57                                     // 000000004CD8: 7E724139
	buffer_load_dwordx4 a[60:63], v45, s[12:15], 0 offen offset:3072// 000000004CDC: E05C1C00 80833C2D
	s_add_u32 s12, s78, s12                                    // 000000004CE4: 800C0C4E
	s_addc_u32 s13, 0, s13                                     // 000000004CE8: 820D0D80
	v_add_f32_e64 v54, v54, 1.0                                // 000000004CEC: D1010036 0001E536
	v_add_f32_e64 v55, v55, 1.0                                // 000000004CF4: D1010037 0001E537
	v_add_f32_e64 v56, v56, 1.0                                // 000000004CFC: D1010038 0001E538
	v_add_f32_e64 v57, v57, 1.0                                // 000000004D04: D1010039 0001E539
	v_rcp_f32_e32 v54, v54                                     // 000000004D0C: 7E6C4536
	v_rcp_f32_e32 v55, v55                                     // 000000004D10: 7E6E4537
	v_rcp_f32_e32 v56, v56                                     // 000000004D14: 7E704538
	v_rcp_f32_e32 v57, v57                                     // 000000004D18: 7E724539
	v_pk_mul_f32 v[156:157], v[156:157], v[54:55]              // 000000004D1C: D3B1409C 18026D9C
	v_pk_mul_f32 v[158:159], v[158:159], v[56:57]              // 000000004D24: D3B1409E 1802719E
	s_waitcnt vmcnt(24)                                        // 000000004D2C: BF8C4F78
	buffer_load_dwordx4 a[64:67], v42, s[12:15], 0 offen       // 000000004D30: E05C1000 8083402A
	v_mul_f32_e64 v54, -v160, s6                               // 000000004D38: D1050036 20000DA0
	v_mul_f32_e64 v55, -v161, s6                               // 000000004D40: D1050037 20000DA1
	v_mul_f32_e64 v56, -v162, s6                               // 000000004D48: D1050038 20000DA2
	v_mul_f32_e64 v57, -v163, s6                               // 000000004D50: D1050039 20000DA3
	v_exp_f32_e32 v54, v54                                     // 000000004D58: 7E6C4136
	v_exp_f32_e32 v55, v55                                     // 000000004D5C: 7E6E4137
	v_exp_f32_e32 v56, v56                                     // 000000004D60: 7E704138
	v_exp_f32_e32 v57, v57                                     // 000000004D64: 7E724139
	buffer_load_dwordx4 a[68:71], v42, s[12:15], 0 offen offset:1024// 000000004D68: E05C1400 8083442A
	v_add_f32_e64 v54, v54, 1.0                                // 000000004D70: D1010036 0001E536
	v_add_f32_e64 v55, v55, 1.0                                // 000000004D78: D1010037 0001E537
	v_add_f32_e64 v56, v56, 1.0                                // 000000004D80: D1010038 0001E538
	v_add_f32_e64 v57, v57, 1.0                                // 000000004D88: D1010039 0001E539
	v_rcp_f32_e32 v54, v54                                     // 000000004D90: 7E6C4536
	v_rcp_f32_e32 v55, v55                                     // 000000004D94: 7E6E4537
	v_rcp_f32_e32 v56, v56                                     // 000000004D98: 7E704538
	v_rcp_f32_e32 v57, v57                                     // 000000004D9C: 7E724539
	v_pk_mul_f32 v[160:161], v[160:161], v[54:55]              // 000000004DA0: D3B140A0 18026DA0
	v_pk_mul_f32 v[162:163], v[162:163], v[56:57]              // 000000004DA8: D3B140A2 180271A2
	buffer_load_dwordx4 a[72:75], v42, s[12:15], 0 offen offset:2048// 000000004DB0: E05C1800 8083482A
	v_mul_f32_e64 v54, -v164, s6                               // 000000004DB8: D1050036 20000DA4
	v_mul_f32_e64 v55, -v165, s6                               // 000000004DC0: D1050037 20000DA5
	v_mul_f32_e64 v56, -v166, s6                               // 000000004DC8: D1050038 20000DA6
	v_mul_f32_e64 v57, -v167, s6                               // 000000004DD0: D1050039 20000DA7
	v_exp_f32_e32 v54, v54                                     // 000000004DD8: 7E6C4136
	v_exp_f32_e32 v55, v55                                     // 000000004DDC: 7E6E4137
	v_exp_f32_e32 v56, v56                                     // 000000004DE0: 7E704138
	v_exp_f32_e32 v57, v57                                     // 000000004DE4: 7E724139
	buffer_load_dwordx4 a[76:79], v42, s[12:15], 0 offen offset:3072// 000000004DE8: E05C1C00 80834C2A
	v_add_f32_e64 v54, v54, 1.0                                // 000000004DF0: D1010036 0001E536
	v_add_f32_e64 v55, v55, 1.0                                // 000000004DF8: D1010037 0001E537
	v_add_f32_e64 v56, v56, 1.0                                // 000000004E00: D1010038 0001E538
	v_add_f32_e64 v57, v57, 1.0                                // 000000004E08: D1010039 0001E539
	v_rcp_f32_e32 v54, v54                                     // 000000004E10: 7E6C4536
	v_rcp_f32_e32 v55, v55                                     // 000000004E14: 7E6E4537
	v_rcp_f32_e32 v56, v56                                     // 000000004E18: 7E704538
	v_rcp_f32_e32 v57, v57                                     // 000000004E1C: 7E724539
	v_pk_mul_f32 v[164:165], v[164:165], v[54:55]              // 000000004E20: D3B140A4 18026DA4
	v_pk_mul_f32 v[166:167], v[166:167], v[56:57]              // 000000004E28: D3B140A6 180271A6
	buffer_load_dwordx4 a[80:83], v43, s[12:15], 0 offen       // 000000004E30: E05C1000 8083502B
	v_mul_f32_e64 v54, -v168, s6                               // 000000004E38: D1050036 20000DA8
	v_mul_f32_e64 v55, -v169, s6                               // 000000004E40: D1050037 20000DA9
	v_mul_f32_e64 v56, -v170, s6                               // 000000004E48: D1050038 20000DAA
	v_mul_f32_e64 v57, -v171, s6                               // 000000004E50: D1050039 20000DAB
	v_exp_f32_e32 v54, v54                                     // 000000004E58: 7E6C4136
	v_exp_f32_e32 v55, v55                                     // 000000004E5C: 7E6E4137
	v_exp_f32_e32 v56, v56                                     // 000000004E60: 7E704138
	v_exp_f32_e32 v57, v57                                     // 000000004E64: 7E724139
	buffer_load_dwordx4 a[84:87], v43, s[12:15], 0 offen offset:1024// 000000004E68: E05C1400 8083542B
	v_add_f32_e64 v54, v54, 1.0                                // 000000004E70: D1010036 0001E536
	v_add_f32_e64 v55, v55, 1.0                                // 000000004E78: D1010037 0001E537
	v_add_f32_e64 v56, v56, 1.0                                // 000000004E80: D1010038 0001E538
	v_add_f32_e64 v57, v57, 1.0                                // 000000004E88: D1010039 0001E539
	v_rcp_f32_e32 v54, v54                                     // 000000004E90: 7E6C4536
	v_rcp_f32_e32 v55, v55                                     // 000000004E94: 7E6E4537
	v_rcp_f32_e32 v56, v56                                     // 000000004E98: 7E704538
	v_rcp_f32_e32 v57, v57                                     // 000000004E9C: 7E724539
	v_pk_mul_f32 v[168:169], v[168:169], v[54:55]              // 000000004EA0: D3B140A8 18026DA8
	v_pk_mul_f32 v[170:171], v[170:171], v[56:57]              // 000000004EA8: D3B140AA 180271AA
	buffer_load_dwordx4 a[88:91], v43, s[12:15], 0 offen offset:2048// 000000004EB0: E05C1800 8083582B
	v_mul_f32_e64 v54, -v172, s6                               // 000000004EB8: D1050036 20000DAC
	v_mul_f32_e64 v55, -v173, s6                               // 000000004EC0: D1050037 20000DAD
	v_mul_f32_e64 v56, -v174, s6                               // 000000004EC8: D1050038 20000DAE
	v_mul_f32_e64 v57, -v175, s6                               // 000000004ED0: D1050039 20000DAF
	v_exp_f32_e32 v54, v54                                     // 000000004ED8: 7E6C4136
	v_exp_f32_e32 v55, v55                                     // 000000004EDC: 7E6E4137
	v_exp_f32_e32 v56, v56                                     // 000000004EE0: 7E704138
	v_exp_f32_e32 v57, v57                                     // 000000004EE4: 7E724139
	buffer_load_dwordx4 a[92:95], v43, s[12:15], 0 offen offset:3072// 000000004EE8: E05C1C00 80835C2B
	v_add_f32_e64 v54, v54, 1.0                                // 000000004EF0: D1010036 0001E536
	v_add_f32_e64 v55, v55, 1.0                                // 000000004EF8: D1010037 0001E537
	v_add_f32_e64 v56, v56, 1.0                                // 000000004F00: D1010038 0001E538
	v_add_f32_e64 v57, v57, 1.0                                // 000000004F08: D1010039 0001E539
	v_rcp_f32_e32 v54, v54                                     // 000000004F10: 7E6C4536
	v_rcp_f32_e32 v55, v55                                     // 000000004F14: 7E6E4537
	v_rcp_f32_e32 v56, v56                                     // 000000004F18: 7E704538
	v_rcp_f32_e32 v57, v57                                     // 000000004F1C: 7E724539
	v_pk_mul_f32 v[172:173], v[172:173], v[54:55]              // 000000004F20: D3B140AC 18026DAC
	v_pk_mul_f32 v[174:175], v[174:175], v[56:57]              // 000000004F28: D3B140AE 180271AE
	s_waitcnt vmcnt(24)                                        // 000000004F30: BF8C4F78
	buffer_load_dwordx4 a[96:99], v44, s[12:15], 0 offen       // 000000004F34: E05C1000 8083602C
	v_mul_f32_e64 v54, -v176, s6                               // 000000004F3C: D1050036 20000DB0
	v_mul_f32_e64 v55, -v177, s6                               // 000000004F44: D1050037 20000DB1
	v_mul_f32_e64 v56, -v178, s6                               // 000000004F4C: D1050038 20000DB2
	v_mul_f32_e64 v57, -v179, s6                               // 000000004F54: D1050039 20000DB3
	v_exp_f32_e32 v54, v54                                     // 000000004F5C: 7E6C4136
	v_exp_f32_e32 v55, v55                                     // 000000004F60: 7E6E4137
	v_exp_f32_e32 v56, v56                                     // 000000004F64: 7E704138
	v_exp_f32_e32 v57, v57                                     // 000000004F68: 7E724139
	buffer_load_dwordx4 a[100:103], v44, s[12:15], 0 offen offset:1024// 000000004F6C: E05C1400 8083642C
	v_add_f32_e64 v54, v54, 1.0                                // 000000004F74: D1010036 0001E536
	v_add_f32_e64 v55, v55, 1.0                                // 000000004F7C: D1010037 0001E537
	v_add_f32_e64 v56, v56, 1.0                                // 000000004F84: D1010038 0001E538
	v_add_f32_e64 v57, v57, 1.0                                // 000000004F8C: D1010039 0001E539
	v_rcp_f32_e32 v54, v54                                     // 000000004F94: 7E6C4536
	v_rcp_f32_e32 v55, v55                                     // 000000004F98: 7E6E4537
	v_rcp_f32_e32 v56, v56                                     // 000000004F9C: 7E704538
	v_rcp_f32_e32 v57, v57                                     // 000000004FA0: 7E724539
	v_pk_mul_f32 v[176:177], v[176:177], v[54:55]              // 000000004FA4: D3B140B0 18026DB0
	v_pk_mul_f32 v[178:179], v[178:179], v[56:57]              // 000000004FAC: D3B140B2 180271B2
	buffer_load_dwordx4 a[104:107], v44, s[12:15], 0 offen offset:2048// 000000004FB4: E05C1800 8083682C
	v_mul_f32_e64 v54, -v180, s6                               // 000000004FBC: D1050036 20000DB4
	v_mul_f32_e64 v55, -v181, s6                               // 000000004FC4: D1050037 20000DB5
	v_mul_f32_e64 v56, -v182, s6                               // 000000004FCC: D1050038 20000DB6
	v_mul_f32_e64 v57, -v183, s6                               // 000000004FD4: D1050039 20000DB7
	v_exp_f32_e32 v54, v54                                     // 000000004FDC: 7E6C4136
	v_exp_f32_e32 v55, v55                                     // 000000004FE0: 7E6E4137
	v_exp_f32_e32 v56, v56                                     // 000000004FE4: 7E704138
	v_exp_f32_e32 v57, v57                                     // 000000004FE8: 7E724139
	buffer_load_dwordx4 a[108:111], v44, s[12:15], 0 offen offset:3072// 000000004FEC: E05C1C00 80836C2C
	v_add_f32_e64 v54, v54, 1.0                                // 000000004FF4: D1010036 0001E536
	v_add_f32_e64 v55, v55, 1.0                                // 000000004FFC: D1010037 0001E537
	v_add_f32_e64 v56, v56, 1.0                                // 000000005004: D1010038 0001E538
	v_add_f32_e64 v57, v57, 1.0                                // 00000000500C: D1010039 0001E539
	v_rcp_f32_e32 v54, v54                                     // 000000005014: 7E6C4536
	v_rcp_f32_e32 v55, v55                                     // 000000005018: 7E6E4537
	v_rcp_f32_e32 v56, v56                                     // 00000000501C: 7E704538
	v_rcp_f32_e32 v57, v57                                     // 000000005020: 7E724539
	v_pk_mul_f32 v[180:181], v[180:181], v[54:55]              // 000000005024: D3B140B4 18026DB4
	v_pk_mul_f32 v[182:183], v[182:183], v[56:57]              // 00000000502C: D3B140B6 180271B6
	buffer_load_dwordx4 a[112:115], v45, s[12:15], 0 offen     // 000000005034: E05C1000 8083702D
	v_mul_f32_e64 v54, -v184, s6                               // 00000000503C: D1050036 20000DB8
	v_mul_f32_e64 v55, -v185, s6                               // 000000005044: D1050037 20000DB9
	v_mul_f32_e64 v56, -v186, s6                               // 00000000504C: D1050038 20000DBA
	v_mul_f32_e64 v57, -v187, s6                               // 000000005054: D1050039 20000DBB
	v_exp_f32_e32 v54, v54                                     // 00000000505C: 7E6C4136
	v_exp_f32_e32 v55, v55                                     // 000000005060: 7E6E4137
	v_exp_f32_e32 v56, v56                                     // 000000005064: 7E704138
	v_exp_f32_e32 v57, v57                                     // 000000005068: 7E724139
	buffer_load_dwordx4 a[116:119], v45, s[12:15], 0 offen offset:1024// 00000000506C: E05C1400 8083742D
	v_add_f32_e64 v54, v54, 1.0                                // 000000005074: D1010036 0001E536
	v_add_f32_e64 v55, v55, 1.0                                // 00000000507C: D1010037 0001E537
	v_add_f32_e64 v56, v56, 1.0                                // 000000005084: D1010038 0001E538
	v_add_f32_e64 v57, v57, 1.0                                // 00000000508C: D1010039 0001E539
	v_rcp_f32_e32 v54, v54                                     // 000000005094: 7E6C4536
	v_rcp_f32_e32 v55, v55                                     // 000000005098: 7E6E4537
	v_rcp_f32_e32 v56, v56                                     // 00000000509C: 7E704538
	v_rcp_f32_e32 v57, v57                                     // 0000000050A0: 7E724539
	v_pk_mul_f32 v[184:185], v[184:185], v[54:55]              // 0000000050A4: D3B140B8 18026DB8
	v_pk_mul_f32 v[186:187], v[186:187], v[56:57]              // 0000000050AC: D3B140BA 180271BA
	buffer_load_dwordx4 a[120:123], v45, s[12:15], 0 offen offset:2048// 0000000050B4: E05C1800 8083782D
	v_mul_f32_e64 v54, -v188, s6                               // 0000000050BC: D1050036 20000DBC
	v_mul_f32_e64 v55, -v189, s6                               // 0000000050C4: D1050037 20000DBD
	v_mul_f32_e64 v56, -v190, s6                               // 0000000050CC: D1050038 20000DBE
	v_mul_f32_e64 v57, -v191, s6                               // 0000000050D4: D1050039 20000DBF
	v_exp_f32_e32 v54, v54                                     // 0000000050DC: 7E6C4136
	v_exp_f32_e32 v55, v55                                     // 0000000050E0: 7E6E4137
	v_exp_f32_e32 v56, v56                                     // 0000000050E4: 7E704138
	v_exp_f32_e32 v57, v57                                     // 0000000050E8: 7E724139
	buffer_load_dwordx4 a[124:127], v45, s[12:15], 0 offen offset:3072// 0000000050EC: E05C1C00 80837C2D
	v_add_f32_e64 v54, v54, 1.0                                // 0000000050F4: D1010036 0001E536
	v_add_f32_e64 v55, v55, 1.0                                // 0000000050FC: D1010037 0001E537
	v_add_f32_e64 v56, v56, 1.0                                // 000000005104: D1010038 0001E538
	v_add_f32_e64 v57, v57, 1.0                                // 00000000510C: D1010039 0001E539
	v_rcp_f32_e32 v54, v54                                     // 000000005114: 7E6C4536
	v_rcp_f32_e32 v55, v55                                     // 000000005118: 7E6E4537
	v_rcp_f32_e32 v56, v56                                     // 00000000511C: 7E704538
	v_rcp_f32_e32 v57, v57                                     // 000000005120: 7E724539
	v_pk_mul_f32 v[188:189], v[188:189], v[54:55]              // 000000005124: D3B140BC 18026DBC
	v_pk_mul_f32 v[190:191], v[190:191], v[56:57]              // 00000000512C: D3B140BE 180271BE
	v_mul_f32_dpp v128, v18, v128 row_newbcast:0 row_mask:0xf bank_mask:0xf// 000000005134: 0B0100FA FF015012
	v_mul_f32_dpp v129, v18, v129 row_newbcast:1 row_mask:0xf bank_mask:0xf// 00000000513C: 0B0302FA FF015112
	v_mul_f32_dpp v130, v18, v130 row_newbcast:2 row_mask:0xf bank_mask:0xf// 000000005144: 0B0504FA FF015212
	v_mul_f32_dpp v131, v18, v131 row_newbcast:3 row_mask:0xf bank_mask:0xf// 00000000514C: 0B0706FA FF015312
	v_mul_f32_dpp v132, v18, v132 row_newbcast:0 row_mask:0xf bank_mask:0xf// 000000005154: 0B0908FA FF015012
	v_mul_f32_dpp v133, v18, v133 row_newbcast:1 row_mask:0xf bank_mask:0xf// 00000000515C: 0B0B0AFA FF015112
	v_mul_f32_dpp v134, v18, v134 row_newbcast:2 row_mask:0xf bank_mask:0xf// 000000005164: 0B0D0CFA FF015212
	v_mul_f32_dpp v135, v18, v135 row_newbcast:3 row_mask:0xf bank_mask:0xf// 00000000516C: 0B0F0EFA FF015312
	v_mul_f32_dpp v136, v18, v136 row_newbcast:4 row_mask:0xf bank_mask:0xf// 000000005174: 0B1110FA FF015412
	v_mul_f32_dpp v137, v18, v137 row_newbcast:5 row_mask:0xf bank_mask:0xf// 00000000517C: 0B1312FA FF015512
	v_mul_f32_dpp v138, v18, v138 row_newbcast:6 row_mask:0xf bank_mask:0xf// 000000005184: 0B1514FA FF015612
	v_mul_f32_dpp v139, v18, v139 row_newbcast:7 row_mask:0xf bank_mask:0xf// 00000000518C: 0B1716FA FF015712
	v_mul_f32_dpp v140, v18, v140 row_newbcast:4 row_mask:0xf bank_mask:0xf// 000000005194: 0B1918FA FF015412
	v_mul_f32_dpp v141, v18, v141 row_newbcast:5 row_mask:0xf bank_mask:0xf// 00000000519C: 0B1B1AFA FF015512
	v_mul_f32_dpp v142, v18, v142 row_newbcast:6 row_mask:0xf bank_mask:0xf// 0000000051A4: 0B1D1CFA FF015612
	v_mul_f32_dpp v143, v18, v143 row_newbcast:7 row_mask:0xf bank_mask:0xf// 0000000051AC: 0B1F1EFA FF015712
	v_mul_f32_dpp v144, v18, v144 row_newbcast:8 row_mask:0xf bank_mask:0xf// 0000000051B4: 0B2120FA FF015812
	v_mul_f32_dpp v145, v18, v145 row_newbcast:9 row_mask:0xf bank_mask:0xf// 0000000051BC: 0B2322FA FF015912
	v_mul_f32_dpp v146, v18, v146 row_newbcast:10 row_mask:0xf bank_mask:0xf// 0000000051C4: 0B2524FA FF015A12
	v_mul_f32_dpp v147, v18, v147 row_newbcast:11 row_mask:0xf bank_mask:0xf// 0000000051CC: 0B2726FA FF015B12
	v_mul_f32_dpp v148, v18, v148 row_newbcast:8 row_mask:0xf bank_mask:0xf// 0000000051D4: 0B2928FA FF015812
	v_mul_f32_dpp v149, v18, v149 row_newbcast:9 row_mask:0xf bank_mask:0xf// 0000000051DC: 0B2B2AFA FF015912
	v_mul_f32_dpp v150, v18, v150 row_newbcast:10 row_mask:0xf bank_mask:0xf// 0000000051E4: 0B2D2CFA FF015A12
	v_mul_f32_dpp v151, v18, v151 row_newbcast:11 row_mask:0xf bank_mask:0xf// 0000000051EC: 0B2F2EFA FF015B12
	v_mul_f32_dpp v152, v18, v152 row_newbcast:12 row_mask:0xf bank_mask:0xf// 0000000051F4: 0B3130FA FF015C12
	v_mul_f32_dpp v153, v18, v153 row_newbcast:13 row_mask:0xf bank_mask:0xf// 0000000051FC: 0B3332FA FF015D12
	v_mul_f32_dpp v154, v18, v154 row_newbcast:14 row_mask:0xf bank_mask:0xf// 000000005204: 0B3534FA FF015E12
	v_mul_f32_dpp v155, v18, v155 row_newbcast:15 row_mask:0xf bank_mask:0xf// 00000000520C: 0B3736FA FF015F12
	v_mul_f32_dpp v156, v18, v156 row_newbcast:12 row_mask:0xf bank_mask:0xf// 000000005214: 0B3938FA FF015C12
	v_mul_f32_dpp v157, v18, v157 row_newbcast:13 row_mask:0xf bank_mask:0xf// 00000000521C: 0B3B3AFA FF015D12
	v_mul_f32_dpp v158, v18, v158 row_newbcast:14 row_mask:0xf bank_mask:0xf// 000000005224: 0B3D3CFA FF015E12
	v_mul_f32_dpp v159, v18, v159 row_newbcast:15 row_mask:0xf bank_mask:0xf// 00000000522C: 0B3F3EFA FF015F12
	v_mul_f32_dpp v160, v19, v160 row_newbcast:0 row_mask:0xf bank_mask:0xf// 000000005234: 0B4140FA FF015013
	v_mul_f32_dpp v161, v19, v161 row_newbcast:1 row_mask:0xf bank_mask:0xf// 00000000523C: 0B4342FA FF015113
	v_mul_f32_dpp v162, v19, v162 row_newbcast:2 row_mask:0xf bank_mask:0xf// 000000005244: 0B4544FA FF015213
	v_mul_f32_dpp v163, v19, v163 row_newbcast:3 row_mask:0xf bank_mask:0xf// 00000000524C: 0B4746FA FF015313
	v_mul_f32_dpp v164, v19, v164 row_newbcast:0 row_mask:0xf bank_mask:0xf// 000000005254: 0B4948FA FF015013
	v_mul_f32_dpp v165, v19, v165 row_newbcast:1 row_mask:0xf bank_mask:0xf// 00000000525C: 0B4B4AFA FF015113
	v_mul_f32_dpp v166, v19, v166 row_newbcast:2 row_mask:0xf bank_mask:0xf// 000000005264: 0B4D4CFA FF015213
	v_mul_f32_dpp v167, v19, v167 row_newbcast:3 row_mask:0xf bank_mask:0xf// 00000000526C: 0B4F4EFA FF015313
	v_mul_f32_dpp v168, v19, v168 row_newbcast:4 row_mask:0xf bank_mask:0xf// 000000005274: 0B5150FA FF015413
	v_mul_f32_dpp v169, v19, v169 row_newbcast:5 row_mask:0xf bank_mask:0xf// 00000000527C: 0B5352FA FF015513
	v_mul_f32_dpp v170, v19, v170 row_newbcast:6 row_mask:0xf bank_mask:0xf// 000000005284: 0B5554FA FF015613
	v_mul_f32_dpp v171, v19, v171 row_newbcast:7 row_mask:0xf bank_mask:0xf// 00000000528C: 0B5756FA FF015713
	v_mul_f32_dpp v172, v19, v172 row_newbcast:4 row_mask:0xf bank_mask:0xf// 000000005294: 0B5958FA FF015413
	v_mul_f32_dpp v173, v19, v173 row_newbcast:5 row_mask:0xf bank_mask:0xf// 00000000529C: 0B5B5AFA FF015513
	v_mul_f32_dpp v174, v19, v174 row_newbcast:6 row_mask:0xf bank_mask:0xf// 0000000052A4: 0B5D5CFA FF015613
	v_mul_f32_dpp v175, v19, v175 row_newbcast:7 row_mask:0xf bank_mask:0xf// 0000000052AC: 0B5F5EFA FF015713
	v_mul_f32_dpp v176, v19, v176 row_newbcast:8 row_mask:0xf bank_mask:0xf// 0000000052B4: 0B6160FA FF015813
	v_mul_f32_dpp v177, v19, v177 row_newbcast:9 row_mask:0xf bank_mask:0xf// 0000000052BC: 0B6362FA FF015913
	v_mul_f32_dpp v178, v19, v178 row_newbcast:10 row_mask:0xf bank_mask:0xf// 0000000052C4: 0B6564FA FF015A13
	v_mul_f32_dpp v179, v19, v179 row_newbcast:11 row_mask:0xf bank_mask:0xf// 0000000052CC: 0B6766FA FF015B13
	v_mul_f32_dpp v180, v19, v180 row_newbcast:8 row_mask:0xf bank_mask:0xf// 0000000052D4: 0B6968FA FF015813
	v_mul_f32_dpp v181, v19, v181 row_newbcast:9 row_mask:0xf bank_mask:0xf// 0000000052DC: 0B6B6AFA FF015913
	v_mul_f32_dpp v182, v19, v182 row_newbcast:10 row_mask:0xf bank_mask:0xf// 0000000052E4: 0B6D6CFA FF015A13
	v_mul_f32_dpp v183, v19, v183 row_newbcast:11 row_mask:0xf bank_mask:0xf// 0000000052EC: 0B6F6EFA FF015B13
	v_mul_f32_dpp v184, v19, v184 row_newbcast:12 row_mask:0xf bank_mask:0xf// 0000000052F4: 0B7170FA FF015C13
	v_mul_f32_dpp v185, v19, v185 row_newbcast:13 row_mask:0xf bank_mask:0xf// 0000000052FC: 0B7372FA FF015D13
	v_mul_f32_dpp v186, v19, v186 row_newbcast:14 row_mask:0xf bank_mask:0xf// 000000005304: 0B7574FA FF015E13
	v_mul_f32_dpp v187, v19, v187 row_newbcast:15 row_mask:0xf bank_mask:0xf// 00000000530C: 0B7776FA FF015F13
	v_mul_f32_dpp v188, v19, v188 row_newbcast:12 row_mask:0xf bank_mask:0xf// 000000005314: 0B7978FA FF015C13
	v_mul_f32_dpp v189, v19, v189 row_newbcast:13 row_mask:0xf bank_mask:0xf// 00000000531C: 0B7B7AFA FF015D13
	v_mul_f32_dpp v190, v19, v190 row_newbcast:14 row_mask:0xf bank_mask:0xf// 000000005324: 0B7D7CFA FF015E13
	v_mul_f32_dpp v191, v19, v191 row_newbcast:15 row_mask:0xf bank_mask:0xf// 00000000532C: 0B7F7EFA FF015F13
	buffer_load_dword v12, v5, s[16:19], 0 offen               // 000000005334: E0501000 80040C05
	v_mov_b32_e32 v22, 0x358637bd                              // 00000000533C: 7E2C02FF 358637BD
	v_mov_b32_e32 v23, 0x358637bd                              // 000000005344: 7E2E02FF 358637BD
	v_max3_f32 v22, |v128|, |v129|, v22                        // 00000000534C: D1D30316 045B0380
	v_max3_f32 v22, |v130|, |v131|, v22                        // 000000005354: D1D30316 045B0782
	v_max3_f32 v23, |v132|, |v133|, v23                        // 00000000535C: D1D30317 045F0B84
	v_max3_f32 v23, |v134|, |v135|, v23                        // 000000005364: D1D30317 045F0F86
	v_max3_f32 v22, |v136|, |v137|, v22                        // 00000000536C: D1D30316 045B1388
	v_max3_f32 v22, |v138|, |v139|, v22                        // 000000005374: D1D30316 045B178A
	v_max3_f32 v23, |v140|, |v141|, v23                        // 00000000537C: D1D30317 045F1B8C
	v_max3_f32 v23, |v142|, |v143|, v23                        // 000000005384: D1D30317 045F1F8E
	v_max3_f32 v22, |v144|, |v145|, v22                        // 00000000538C: D1D30316 045B2390
	v_max3_f32 v22, |v146|, |v147|, v22                        // 000000005394: D1D30316 045B2792
	v_max3_f32 v23, |v148|, |v149|, v23                        // 00000000539C: D1D30317 045F2B94
	v_max3_f32 v23, |v150|, |v151|, v23                        // 0000000053A4: D1D30317 045F2F96
	v_max3_f32 v22, |v152|, |v153|, v22                        // 0000000053AC: D1D30316 045B3398
	v_max3_f32 v22, |v154|, |v155|, v22                        // 0000000053B4: D1D30316 045B379A
	v_max3_f32 v23, |v156|, |v157|, v23                        // 0000000053BC: D1D30317 045F3B9C
	v_max3_f32 v23, |v158|, |v159|, v23                        // 0000000053C4: D1D30317 045F3F9E
	v_max3_f32 v22, |v160|, |v161|, v22                        // 0000000053CC: D1D30316 045B43A0
	v_max3_f32 v22, |v162|, |v163|, v22                        // 0000000053D4: D1D30316 045B47A2
	v_max3_f32 v23, |v164|, |v165|, v23                        // 0000000053DC: D1D30317 045F4BA4
	v_max3_f32 v23, |v166|, |v167|, v23                        // 0000000053E4: D1D30317 045F4FA6
	v_max3_f32 v22, |v168|, |v169|, v22                        // 0000000053EC: D1D30316 045B53A8
	v_max3_f32 v22, |v170|, |v171|, v22                        // 0000000053F4: D1D30316 045B57AA
	v_max3_f32 v23, |v172|, |v173|, v23                        // 0000000053FC: D1D30317 045F5BAC
	v_max3_f32 v23, |v174|, |v175|, v23                        // 000000005404: D1D30317 045F5FAE
	v_max3_f32 v22, |v176|, |v177|, v22                        // 00000000540C: D1D30316 045B63B0
	v_max3_f32 v22, |v178|, |v179|, v22                        // 000000005414: D1D30316 045B67B2
	v_max3_f32 v23, |v180|, |v181|, v23                        // 00000000541C: D1D30317 045F6BB4
	v_max3_f32 v23, |v182|, |v183|, v23                        // 000000005424: D1D30317 045F6FB6
	v_max3_f32 v22, |v184|, |v185|, v22                        // 00000000542C: D1D30316 045B73B8
	v_max3_f32 v22, |v186|, |v187|, v22                        // 000000005434: D1D30316 045B77BA
	v_max3_f32 v23, |v188|, |v189|, v23                        // 00000000543C: D1D30317 045F7BBC
	v_max3_f32 v23, |v190|, |v191|, v23                        // 000000005444: D1D30317 045F7FBE
	v_lshlrev_b32_e32 v54, 3, v0                               // 00000000544C: 246C0083
	s_mul_i32 s60, 0x200, s5                                   // 000000005450: 923C05FF 00000200
	v_add_u32_e32 v54, s60, v54                                // 000000005458: 686C6C3C
	ds_write_b64 v54, v[22:23] offset:16640                    // 00000000545C: D89A4100 00001636
	s_waitcnt lgkmcnt(0)                                       // 000000005464: BF8CC07F
	s_barrier                                                  // 000000005468: BF8A0000
	v_and_b32_e32 v54, 15, v0                                  // 00000000546C: 266C008F
	v_lshlrev_b32_e32 v54, 3, v54                              // 000000005470: 246C6C83
	ds_read_b64 v[96:97], v54 offset:16640                     // 000000005474: D8EC4100 60000036
	ds_read_b64 v[98:99], v54 offset:16768                     // 00000000547C: D8EC4180 62000036
	ds_read_b64 v[100:101], v54 offset:16896                   // 000000005484: D8EC4200 64000036
	ds_read_b64 v[102:103], v54 offset:17024                   // 00000000548C: D8EC4280 66000036
	ds_read_b64 v[104:105], v54 offset:17152                   // 000000005494: D8EC4300 68000036
	ds_read_b64 v[106:107], v54 offset:17280                   // 00000000549C: D8EC4380 6A000036
	ds_read_b64 v[108:109], v54 offset:17408                   // 0000000054A4: D8EC4400 6C000036
	ds_read_b64 v[110:111], v54 offset:17536                   // 0000000054AC: D8EC4480 6E000036
	ds_read_b64 v[112:113], v54 offset:17664                   // 0000000054B4: D8EC4500 70000036
	ds_read_b64 v[114:115], v54 offset:17792                   // 0000000054BC: D8EC4580 72000036
	ds_read_b64 v[116:117], v54 offset:17920                   // 0000000054C4: D8EC4600 74000036
	ds_read_b64 v[118:119], v54 offset:18048                   // 0000000054CC: D8EC4680 76000036
	ds_read_b64 v[120:121], v54 offset:18176                   // 0000000054D4: D8EC4700 78000036
	ds_read_b64 v[122:123], v54 offset:18304                   // 0000000054DC: D8EC4780 7A000036
	ds_read_b64 v[124:125], v54 offset:18432                   // 0000000054E4: D8EC4800 7C000036
	ds_read_b64 v[126:127], v54 offset:18560                   // 0000000054EC: D8EC4880 7E000036
	s_waitcnt lgkmcnt(0)                                       // 0000000054F4: BF8CC07F
	v_max3_f32 v22, |v96|, |v98|, v22                          // 0000000054F8: D1D30316 045AC560
	v_max3_f32 v23, |v97|, |v99|, v23                          // 000000005500: D1D30317 045EC761
	v_max3_f32 v22, |v100|, |v102|, v22                        // 000000005508: D1D30316 045ACD64
	v_max3_f32 v23, |v101|, |v103|, v23                        // 000000005510: D1D30317 045ECF65
	v_max3_f32 v22, |v104|, |v106|, v22                        // 000000005518: D1D30316 045AD568
	v_max3_f32 v23, |v105|, |v107|, v23                        // 000000005520: D1D30317 045ED769
	v_max3_f32 v22, |v108|, |v110|, v22                        // 000000005528: D1D30316 045ADD6C
	v_max3_f32 v23, |v109|, |v111|, v23                        // 000000005530: D1D30317 045EDF6D
	v_max3_f32 v22, |v112|, |v114|, v22                        // 000000005538: D1D30316 045AE570
	v_max3_f32 v23, |v113|, |v115|, v23                        // 000000005540: D1D30317 045EE771
	v_max3_f32 v22, |v116|, |v118|, v22                        // 000000005548: D1D30316 045AED74
	v_max3_f32 v23, |v117|, |v119|, v23                        // 000000005550: D1D30317 045EEF75
	v_max3_f32 v22, |v120|, |v122|, v22                        // 000000005558: D1D30316 045AF578
	v_max3_f32 v23, |v121|, |v123|, v23                        // 000000005560: D1D30317 045EF779
	v_max3_f32 v22, |v124|, |v126|, v22                        // 000000005568: D1D30316 045AFD7C
	v_max3_f32 v23, |v125|, |v127|, v23                        // 000000005570: D1D30317 045EFF7D
	v_rcp_f32_e32 v22, v22                                     // 000000005578: 7E2C4516
	v_rcp_f32_e32 v23, v23                                     // 00000000557C: 7E2E4517
	v_mul_f32_e32 v22, 0x42fe0000, v22                         // 000000005580: 0A2C2CFF 42FE0000
	v_mul_f32_e32 v23, 0x42fe0000, v23                         // 000000005588: 0A2E2EFF 42FE0000
	v_mul_f32_e32 v128, v22, v128                              // 000000005590: 0B010116
	v_mul_f32_e32 v129, v22, v129                              // 000000005594: 0B030316
	v_mul_f32_e32 v130, v22, v130                              // 000000005598: 0B050516
	v_mul_f32_e32 v131, v22, v131                              // 00000000559C: 0B070716
	v_cvt_i32_f32_e32 v128, v128                               // 0000000055A0: 7F001180
	v_cvt_i32_f32_e32 v129, v129                               // 0000000055A4: 7F021181
	v_cvt_i32_f32_e32 v130, v130                               // 0000000055A8: 7F041182
	v_cvt_i32_f32_e32 v131, v131                               // 0000000055AC: 7F061183
	v_perm_b32 v128, v129, v128, s53                           // 0000000055B0: D1ED0080 00D70181
	v_perm_b32 v128, v130, v128, s54                           // 0000000055B8: D1ED0080 00DB0182
	v_perm_b32 v128, v131, v128, s55                           // 0000000055C0: D1ED0080 00DF0183
	v_mul_f32_e32 v132, v23, v132                              // 0000000055C8: 0B090917
	v_mul_f32_e32 v133, v23, v133                              // 0000000055CC: 0B0B0B17
	v_mul_f32_e32 v134, v23, v134                              // 0000000055D0: 0B0D0D17
	v_mul_f32_e32 v135, v23, v135                              // 0000000055D4: 0B0F0F17
	v_cvt_i32_f32_e32 v132, v132                               // 0000000055D8: 7F081184
	v_cvt_i32_f32_e32 v133, v133                               // 0000000055DC: 7F0A1185
	v_cvt_i32_f32_e32 v134, v134                               // 0000000055E0: 7F0C1186
	v_cvt_i32_f32_e32 v135, v135                               // 0000000055E4: 7F0E1187
	v_perm_b32 v129, v133, v132, s53                           // 0000000055E8: D1ED0081 00D70985
	v_perm_b32 v129, v134, v129, s54                           // 0000000055F0: D1ED0081 00DB0386
	v_perm_b32 v129, v135, v129, s55                           // 0000000055F8: D1ED0081 00DF0387
	v_mul_f32_e32 v136, v22, v136                              // 000000005600: 0B111116
	v_mul_f32_e32 v137, v22, v137                              // 000000005604: 0B131316
	v_mul_f32_e32 v138, v22, v138                              // 000000005608: 0B151516
	v_mul_f32_e32 v139, v22, v139                              // 00000000560C: 0B171716
	v_cvt_i32_f32_e32 v136, v136                               // 000000005610: 7F101188
	v_cvt_i32_f32_e32 v137, v137                               // 000000005614: 7F121189
	v_cvt_i32_f32_e32 v138, v138                               // 000000005618: 7F14118A
	v_cvt_i32_f32_e32 v139, v139                               // 00000000561C: 7F16118B
	v_perm_b32 v130, v137, v136, s53                           // 000000005620: D1ED0082 00D71189
	v_perm_b32 v130, v138, v130, s54                           // 000000005628: D1ED0082 00DB058A
	v_perm_b32 v130, v139, v130, s55                           // 000000005630: D1ED0082 00DF058B
	v_mul_f32_e32 v140, v23, v140                              // 000000005638: 0B191917
	v_mul_f32_e32 v141, v23, v141                              // 00000000563C: 0B1B1B17
	v_mul_f32_e32 v142, v23, v142                              // 000000005640: 0B1D1D17
	v_mul_f32_e32 v143, v23, v143                              // 000000005644: 0B1F1F17
	v_cvt_i32_f32_e32 v140, v140                               // 000000005648: 7F18118C
	v_cvt_i32_f32_e32 v141, v141                               // 00000000564C: 7F1A118D
	v_cvt_i32_f32_e32 v142, v142                               // 000000005650: 7F1C118E
	v_cvt_i32_f32_e32 v143, v143                               // 000000005654: 7F1E118F
	v_perm_b32 v131, v141, v140, s53                           // 000000005658: D1ED0083 00D7198D
	v_perm_b32 v131, v142, v131, s54                           // 000000005660: D1ED0083 00DB078E
	v_perm_b32 v131, v143, v131, s55                           // 000000005668: D1ED0083 00DF078F
	v_mul_f32_e32 v144, v22, v144                              // 000000005670: 0B212116
	v_mul_f32_e32 v145, v22, v145                              // 000000005674: 0B232316
	v_mul_f32_e32 v146, v22, v146                              // 000000005678: 0B252516
	v_mul_f32_e32 v147, v22, v147                              // 00000000567C: 0B272716
	v_cvt_i32_f32_e32 v144, v144                               // 000000005680: 7F201190
	v_cvt_i32_f32_e32 v145, v145                               // 000000005684: 7F221191
	v_cvt_i32_f32_e32 v146, v146                               // 000000005688: 7F241192
	v_cvt_i32_f32_e32 v147, v147                               // 00000000568C: 7F261193
	v_perm_b32 v132, v145, v144, s53                           // 000000005690: D1ED0084 00D72191
	v_perm_b32 v132, v146, v132, s54                           // 000000005698: D1ED0084 00DB0992
	v_perm_b32 v132, v147, v132, s55                           // 0000000056A0: D1ED0084 00DF0993
	v_mul_f32_e32 v148, v23, v148                              // 0000000056A8: 0B292917
	v_mul_f32_e32 v149, v23, v149                              // 0000000056AC: 0B2B2B17
	v_mul_f32_e32 v150, v23, v150                              // 0000000056B0: 0B2D2D17
	v_mul_f32_e32 v151, v23, v151                              // 0000000056B4: 0B2F2F17
	v_cvt_i32_f32_e32 v148, v148                               // 0000000056B8: 7F281194
	v_cvt_i32_f32_e32 v149, v149                               // 0000000056BC: 7F2A1195
	v_cvt_i32_f32_e32 v150, v150                               // 0000000056C0: 7F2C1196
	v_cvt_i32_f32_e32 v151, v151                               // 0000000056C4: 7F2E1197
	v_perm_b32 v133, v149, v148, s53                           // 0000000056C8: D1ED0085 00D72995
	v_perm_b32 v133, v150, v133, s54                           // 0000000056D0: D1ED0085 00DB0B96
	v_perm_b32 v133, v151, v133, s55                           // 0000000056D8: D1ED0085 00DF0B97
	v_mul_f32_e32 v152, v22, v152                              // 0000000056E0: 0B313116
	v_mul_f32_e32 v153, v22, v153                              // 0000000056E4: 0B333316
	v_mul_f32_e32 v154, v22, v154                              // 0000000056E8: 0B353516
	v_mul_f32_e32 v155, v22, v155                              // 0000000056EC: 0B373716
	v_cvt_i32_f32_e32 v152, v152                               // 0000000056F0: 7F301198
	v_cvt_i32_f32_e32 v153, v153                               // 0000000056F4: 7F321199
	v_cvt_i32_f32_e32 v154, v154                               // 0000000056F8: 7F34119A
	v_cvt_i32_f32_e32 v155, v155                               // 0000000056FC: 7F36119B
	v_perm_b32 v134, v153, v152, s53                           // 000000005700: D1ED0086 00D73199
	v_perm_b32 v134, v154, v134, s54                           // 000000005708: D1ED0086 00DB0D9A
	v_perm_b32 v134, v155, v134, s55                           // 000000005710: D1ED0086 00DF0D9B
	v_mul_f32_e32 v156, v23, v156                              // 000000005718: 0B393917
	v_mul_f32_e32 v157, v23, v157                              // 00000000571C: 0B3B3B17
	v_mul_f32_e32 v158, v23, v158                              // 000000005720: 0B3D3D17
	v_mul_f32_e32 v159, v23, v159                              // 000000005724: 0B3F3F17
	v_cvt_i32_f32_e32 v156, v156                               // 000000005728: 7F38119C
	v_cvt_i32_f32_e32 v157, v157                               // 00000000572C: 7F3A119D
	v_cvt_i32_f32_e32 v158, v158                               // 000000005730: 7F3C119E
	v_cvt_i32_f32_e32 v159, v159                               // 000000005734: 7F3E119F
	v_perm_b32 v135, v157, v156, s53                           // 000000005738: D1ED0087 00D7399D
	v_perm_b32 v135, v158, v135, s54                           // 000000005740: D1ED0087 00DB0F9E
	v_perm_b32 v135, v159, v135, s55                           // 000000005748: D1ED0087 00DF0F9F
	v_mul_f32_e32 v160, v22, v160                              // 000000005750: 0B414116
	v_mul_f32_e32 v161, v22, v161                              // 000000005754: 0B434316
	v_mul_f32_e32 v162, v22, v162                              // 000000005758: 0B454516
	v_mul_f32_e32 v163, v22, v163                              // 00000000575C: 0B474716
	v_cvt_i32_f32_e32 v160, v160                               // 000000005760: 7F4011A0
	v_cvt_i32_f32_e32 v161, v161                               // 000000005764: 7F4211A1
	v_cvt_i32_f32_e32 v162, v162                               // 000000005768: 7F4411A2
	v_cvt_i32_f32_e32 v163, v163                               // 00000000576C: 7F4611A3
	v_perm_b32 v136, v161, v160, s53                           // 000000005770: D1ED0088 00D741A1
	v_perm_b32 v136, v162, v136, s54                           // 000000005778: D1ED0088 00DB11A2
	v_perm_b32 v136, v163, v136, s55                           // 000000005780: D1ED0088 00DF11A3
	v_mul_f32_e32 v164, v23, v164                              // 000000005788: 0B494917
	v_mul_f32_e32 v165, v23, v165                              // 00000000578C: 0B4B4B17
	v_mul_f32_e32 v166, v23, v166                              // 000000005790: 0B4D4D17
	v_mul_f32_e32 v167, v23, v167                              // 000000005794: 0B4F4F17
	v_cvt_i32_f32_e32 v164, v164                               // 000000005798: 7F4811A4
	v_cvt_i32_f32_e32 v165, v165                               // 00000000579C: 7F4A11A5
	v_cvt_i32_f32_e32 v166, v166                               // 0000000057A0: 7F4C11A6
	v_cvt_i32_f32_e32 v167, v167                               // 0000000057A4: 7F4E11A7
	v_perm_b32 v137, v165, v164, s53                           // 0000000057A8: D1ED0089 00D749A5
	v_perm_b32 v137, v166, v137, s54                           // 0000000057B0: D1ED0089 00DB13A6
	v_perm_b32 v137, v167, v137, s55                           // 0000000057B8: D1ED0089 00DF13A7
	v_mul_f32_e32 v168, v22, v168                              // 0000000057C0: 0B515116
	v_mul_f32_e32 v169, v22, v169                              // 0000000057C4: 0B535316
	v_mul_f32_e32 v170, v22, v170                              // 0000000057C8: 0B555516
	v_mul_f32_e32 v171, v22, v171                              // 0000000057CC: 0B575716
	v_cvt_i32_f32_e32 v168, v168                               // 0000000057D0: 7F5011A8
	v_cvt_i32_f32_e32 v169, v169                               // 0000000057D4: 7F5211A9
	v_cvt_i32_f32_e32 v170, v170                               // 0000000057D8: 7F5411AA
	v_cvt_i32_f32_e32 v171, v171                               // 0000000057DC: 7F5611AB
	v_perm_b32 v138, v169, v168, s53                           // 0000000057E0: D1ED008A 00D751A9
	v_perm_b32 v138, v170, v138, s54                           // 0000000057E8: D1ED008A 00DB15AA
	v_perm_b32 v138, v171, v138, s55                           // 0000000057F0: D1ED008A 00DF15AB
	v_mul_f32_e32 v172, v23, v172                              // 0000000057F8: 0B595917
	v_mul_f32_e32 v173, v23, v173                              // 0000000057FC: 0B5B5B17
	v_mul_f32_e32 v174, v23, v174                              // 000000005800: 0B5D5D17
	v_mul_f32_e32 v175, v23, v175                              // 000000005804: 0B5F5F17
	v_cvt_i32_f32_e32 v172, v172                               // 000000005808: 7F5811AC
	v_cvt_i32_f32_e32 v173, v173                               // 00000000580C: 7F5A11AD
	v_cvt_i32_f32_e32 v174, v174                               // 000000005810: 7F5C11AE
	v_cvt_i32_f32_e32 v175, v175                               // 000000005814: 7F5E11AF
	v_perm_b32 v139, v173, v172, s53                           // 000000005818: D1ED008B 00D759AD
	v_perm_b32 v139, v174, v139, s54                           // 000000005820: D1ED008B 00DB17AE
	v_perm_b32 v139, v175, v139, s55                           // 000000005828: D1ED008B 00DF17AF
	v_mul_f32_e32 v176, v22, v176                              // 000000005830: 0B616116
	v_mul_f32_e32 v177, v22, v177                              // 000000005834: 0B636316
	v_mul_f32_e32 v178, v22, v178                              // 000000005838: 0B656516
	v_mul_f32_e32 v179, v22, v179                              // 00000000583C: 0B676716
	v_cvt_i32_f32_e32 v176, v176                               // 000000005840: 7F6011B0
	v_cvt_i32_f32_e32 v177, v177                               // 000000005844: 7F6211B1
	v_cvt_i32_f32_e32 v178, v178                               // 000000005848: 7F6411B2
	v_cvt_i32_f32_e32 v179, v179                               // 00000000584C: 7F6611B3
	v_perm_b32 v140, v177, v176, s53                           // 000000005850: D1ED008C 00D761B1
	v_perm_b32 v140, v178, v140, s54                           // 000000005858: D1ED008C 00DB19B2
	v_perm_b32 v140, v179, v140, s55                           // 000000005860: D1ED008C 00DF19B3
	v_mul_f32_e32 v180, v23, v180                              // 000000005868: 0B696917
	v_mul_f32_e32 v181, v23, v181                              // 00000000586C: 0B6B6B17
	v_mul_f32_e32 v182, v23, v182                              // 000000005870: 0B6D6D17
	v_mul_f32_e32 v183, v23, v183                              // 000000005874: 0B6F6F17
	v_cvt_i32_f32_e32 v180, v180                               // 000000005878: 7F6811B4
	v_cvt_i32_f32_e32 v181, v181                               // 00000000587C: 7F6A11B5
	v_cvt_i32_f32_e32 v182, v182                               // 000000005880: 7F6C11B6
	v_cvt_i32_f32_e32 v183, v183                               // 000000005884: 7F6E11B7
	v_perm_b32 v141, v181, v180, s53                           // 000000005888: D1ED008D 00D769B5
	v_perm_b32 v141, v182, v141, s54                           // 000000005890: D1ED008D 00DB1BB6
	v_perm_b32 v141, v183, v141, s55                           // 000000005898: D1ED008D 00DF1BB7
	v_mul_f32_e32 v184, v22, v184                              // 0000000058A0: 0B717116
	v_mul_f32_e32 v185, v22, v185                              // 0000000058A4: 0B737316
	v_mul_f32_e32 v186, v22, v186                              // 0000000058A8: 0B757516
	v_mul_f32_e32 v187, v22, v187                              // 0000000058AC: 0B777716
	v_cvt_i32_f32_e32 v184, v184                               // 0000000058B0: 7F7011B8
	v_cvt_i32_f32_e32 v185, v185                               // 0000000058B4: 7F7211B9
	v_cvt_i32_f32_e32 v186, v186                               // 0000000058B8: 7F7411BA
	v_cvt_i32_f32_e32 v187, v187                               // 0000000058BC: 7F7611BB
	v_perm_b32 v142, v185, v184, s53                           // 0000000058C0: D1ED008E 00D771B9
	v_perm_b32 v142, v186, v142, s54                           // 0000000058C8: D1ED008E 00DB1DBA
	v_perm_b32 v142, v187, v142, s55                           // 0000000058D0: D1ED008E 00DF1DBB
	v_mul_f32_e32 v188, v23, v188                              // 0000000058D8: 0B797917
	v_mul_f32_e32 v189, v23, v189                              // 0000000058DC: 0B7B7B17
	v_mul_f32_e32 v190, v23, v190                              // 0000000058E0: 0B7D7D17
	v_mul_f32_e32 v191, v23, v191                              // 0000000058E4: 0B7F7F17
	v_cvt_i32_f32_e32 v188, v188                               // 0000000058E8: 7F7811BC
	v_cvt_i32_f32_e32 v189, v189                               // 0000000058EC: 7F7A11BD
	v_cvt_i32_f32_e32 v190, v190                               // 0000000058F0: 7F7C11BE
	v_cvt_i32_f32_e32 v191, v191                               // 0000000058F4: 7F7E11BF
	v_perm_b32 v143, v189, v188, s53                           // 0000000058F8: D1ED008F 00D779BD
	v_perm_b32 v143, v190, v143, s54                           // 000000005900: D1ED008F 00DB1FBE
	v_perm_b32 v143, v191, v143, s55                           // 000000005908: D1ED008F 00DF1FBF
	v_rcp_f32_e32 v24, v22                                     // 000000005910: 7E304516
	v_rcp_f32_e32 v25, v23                                     // 000000005914: 7E324517
	v_lshrrev_b32_e32 v54, 5, v0                               // 000000005918: 206C0085
	v_lshlrev_b32_e32 v55, 5, v54                              // 00000000591C: 246E6C85
	v_and_b32_e32 v54, 31, v0                                  // 000000005920: 266C009F
	v_lshrrev_b32_e32 v56, 4, v54                              // 000000005924: 20706C84
	v_add_u32_e32 v55, v56, v55                                // 000000005928: 686E6F38
	v_and_b32_e32 v54, 15, v0                                  // 00000000592C: 266C008F
	v_lshlrev_b32_e32 v54, 1, v54                              // 000000005930: 246C6C81
	v_add_u32_e32 v55, v54, v55                                // 000000005934: 686E6F36
	v_lshlrev_b32_e32 v54, 2, v55                              // 000000005938: 246C6E82
	s_mul_i32 s60, 0x100, s5                                   // 00000000593C: 923C05FF 00000100
	v_add_u32_e64 v54, v54, s60                                // 000000005944: D1340036 00007936
	ds_write_b32 v54, v128 offset:18688                        // 00000000594C: D81A4900 00008036
	ds_write_b32 v54, v129 offset:26880                        // 000000005954: D81A6900 00008136
	ds_write_b32 v54, v130 offset:19712                        // 00000000595C: D81A4D00 00008236
	ds_write_b32 v54, v131 offset:27904                        // 000000005964: D81A6D00 00008336
	ds_write_b32 v54, v132 offset:20736                        // 00000000596C: D81A5100 00008436
	ds_write_b32 v54, v133 offset:28928                        // 000000005974: D81A7100 00008536
	ds_write_b32 v54, v134 offset:21760                        // 00000000597C: D81A5500 00008636
	ds_write_b32 v54, v135 offset:29952                        // 000000005984: D81A7500 00008736
	ds_write_b32 v54, v136 offset:22784                        // 00000000598C: D81A5900 00008836
	ds_write_b32 v54, v137 offset:30976                        // 000000005994: D81A7900 00008936
	ds_write_b32 v54, v138 offset:23808                        // 00000000599C: D81A5D00 00008A36
	ds_write_b32 v54, v139 offset:32000                        // 0000000059A4: D81A7D00 00008B36
	ds_write_b32 v54, v140 offset:24832                        // 0000000059AC: D81A6100 00008C36
	ds_write_b32 v54, v141 offset:33024                        // 0000000059B4: D81A8100 00008D36
	ds_write_b32 v54, v142 offset:25856                        // 0000000059BC: D81A6500 00008E36
	ds_write_b32 v54, v143 offset:34048                        // 0000000059C4: D81A8500 00008F36
	s_waitcnt lgkmcnt(0)                                       // 0000000059CC: BF8CC07F
	s_barrier                                                  // 0000000059D0: BF8A0000
	v_lshrrev_b32_e32 v54, 4, v0                               // 0000000059D4: 206C0084
	v_lshlrev_b32_e32 v55, 6, v54                              // 0000000059D8: 246E6C86
	v_and_b32_e32 v54, 15, v0                                  // 0000000059DC: 266C008F
	v_lshlrev_b32_e32 v54, 1, v54                              // 0000000059E0: 246C6C81
	v_add_u32_e32 v55, v54, v55                                // 0000000059E4: 686E6F36
	v_lshlrev_b32_e32 v54, 2, v55                              // 0000000059E8: 246C6E82
	ds_read_b64 v[128:129], v54 offset:18688                   // 0000000059EC: D8EC4900 80000036
	ds_read_b64 v[130:131], v54 offset:18816                   // 0000000059F4: D8EC4980 82000036
	ds_read_b64 v[132:133], v54 offset:19712                   // 0000000059FC: D8EC4D00 84000036
	ds_read_b64 v[134:135], v54 offset:19840                   // 000000005A04: D8EC4D80 86000036
	ds_read_b64 v[136:137], v54 offset:20736                   // 000000005A0C: D8EC5100 88000036
	ds_read_b64 v[138:139], v54 offset:20864                   // 000000005A14: D8EC5180 8A000036
	ds_read_b64 v[140:141], v54 offset:21760                   // 000000005A1C: D8EC5500 8C000036
	ds_read_b64 v[142:143], v54 offset:21888                   // 000000005A24: D8EC5580 8E000036
	ds_read_b64 v[144:145], v54 offset:22784                   // 000000005A2C: D8EC5900 90000036
	ds_read_b64 v[146:147], v54 offset:22912                   // 000000005A34: D8EC5980 92000036
	ds_read_b64 v[148:149], v54 offset:23808                   // 000000005A3C: D8EC5D00 94000036
	ds_read_b64 v[150:151], v54 offset:23936                   // 000000005A44: D8EC5D80 96000036
	ds_read_b64 v[152:153], v54 offset:24832                   // 000000005A4C: D8EC6100 98000036
	ds_read_b64 v[154:155], v54 offset:24960                   // 000000005A54: D8EC6180 9A000036
	ds_read_b64 v[156:157], v54 offset:25856                   // 000000005A5C: D8EC6500 9C000036
	ds_read_b64 v[158:159], v54 offset:25984                   // 000000005A64: D8EC6580 9E000036
	ds_read_b64 v[160:161], v54 offset:26880                   // 000000005A6C: D8EC6900 A0000036
	ds_read_b64 v[162:163], v54 offset:27008                   // 000000005A74: D8EC6980 A2000036
	ds_read_b64 v[164:165], v54 offset:27904                   // 000000005A7C: D8EC6D00 A4000036
	ds_read_b64 v[166:167], v54 offset:28032                   // 000000005A84: D8EC6D80 A6000036
	ds_read_b64 v[168:169], v54 offset:28928                   // 000000005A8C: D8EC7100 A8000036
	ds_read_b64 v[170:171], v54 offset:29056                   // 000000005A94: D8EC7180 AA000036
	ds_read_b64 v[172:173], v54 offset:29952                   // 000000005A9C: D8EC7500 AC000036
	ds_read_b64 v[174:175], v54 offset:30080                   // 000000005AA4: D8EC7580 AE000036
	ds_read_b64 v[176:177], v54 offset:30976                   // 000000005AAC: D8EC7900 B0000036
	ds_read_b64 v[178:179], v54 offset:31104                   // 000000005AB4: D8EC7980 B2000036
	ds_read_b64 v[180:181], v54 offset:32000                   // 000000005ABC: D8EC7D00 B4000036
	ds_read_b64 v[182:183], v54 offset:32128                   // 000000005AC4: D8EC7D80 B6000036
	ds_read_b64 v[184:185], v54 offset:33024                   // 000000005ACC: D8EC8100 B8000036
	ds_read_b64 v[186:187], v54 offset:33152                   // 000000005AD4: D8EC8180 BA000036
	ds_read_b64 v[188:189], v54 offset:34048                   // 000000005ADC: D8EC8500 BC000036
	ds_read_b64 v[190:191], v54 offset:34176                   // 000000005AE4: D8EC8580 BE000036
	s_add_u32 s12, s56, s12                                    // 000000005AEC: 800C0C38
	s_addc_u32 s13, 0, s13                                     // 000000005AF0: 820D0D80
	s_add_u32 s16, s79, s16                                    // 000000005AF4: 8010104F
	s_addc_u32 s17, 0, s17                                     // 000000005AF8: 82111180
	s_waitcnt lgkmcnt(0)                                       // 000000005AFC: BF8CC07F
	s_barrier                                                  // 000000005B00: BF8A0000
	v_mov_b32_e32 v192, 0                                      // 000000005B04: 7F800280
	v_mov_b32_e32 v224, 0                                      // 000000005B08: 7FC00280
	v_mov_b32_e32 v193, 0                                      // 000000005B0C: 7F820280
	v_mov_b32_e32 v225, 0                                      // 000000005B10: 7FC20280
	v_mov_b32_e32 v194, 0                                      // 000000005B14: 7F840280
	v_mov_b32_e32 v226, 0                                      // 000000005B18: 7FC40280
	v_mov_b32_e32 v195, 0                                      // 000000005B1C: 7F860280
	v_mov_b32_e32 v227, 0                                      // 000000005B20: 7FC60280
	v_mov_b32_e32 v196, 0                                      // 000000005B24: 7F880280
	v_mov_b32_e32 v228, 0                                      // 000000005B28: 7FC80280
	v_mov_b32_e32 v197, 0                                      // 000000005B2C: 7F8A0280
	v_mov_b32_e32 v229, 0                                      // 000000005B30: 7FCA0280
	v_mov_b32_e32 v198, 0                                      // 000000005B34: 7F8C0280
	v_mov_b32_e32 v230, 0                                      // 000000005B38: 7FCC0280
	v_mov_b32_e32 v199, 0                                      // 000000005B3C: 7F8E0280
	v_mov_b32_e32 v231, 0                                      // 000000005B40: 7FCE0280
	v_mov_b32_e32 v200, 0                                      // 000000005B44: 7F900280
	v_mov_b32_e32 v232, 0                                      // 000000005B48: 7FD00280
	v_mov_b32_e32 v201, 0                                      // 000000005B4C: 7F920280
	v_mov_b32_e32 v233, 0                                      // 000000005B50: 7FD20280
	v_mov_b32_e32 v202, 0                                      // 000000005B54: 7F940280
	v_mov_b32_e32 v234, 0                                      // 000000005B58: 7FD40280
	v_mov_b32_e32 v203, 0                                      // 000000005B5C: 7F960280
	v_mov_b32_e32 v235, 0                                      // 000000005B60: 7FD60280
	v_mov_b32_e32 v204, 0                                      // 000000005B64: 7F980280
	v_mov_b32_e32 v236, 0                                      // 000000005B68: 7FD80280
	v_mov_b32_e32 v205, 0                                      // 000000005B6C: 7F9A0280
	v_mov_b32_e32 v237, 0                                      // 000000005B70: 7FDA0280
	v_mov_b32_e32 v206, 0                                      // 000000005B74: 7F9C0280
	v_mov_b32_e32 v238, 0                                      // 000000005B78: 7FDC0280
	v_mov_b32_e32 v207, 0                                      // 000000005B7C: 7F9E0280
	v_mov_b32_e32 v239, 0                                      // 000000005B80: 7FDE0280
	ds_write_b64 v3, v[192:193] offset:18688                   // 000000005B84: D89A4900 0000C003
	ds_write_b64 v3, v[194:195] offset:27392                   // 000000005B8C: D89A6B00 0000C203
	ds_write_b64 v3, v[196:197] offset:20864                   // 000000005B94: D89A5180 0000C403
	ds_write_b64 v3, v[198:199] offset:29568                   // 000000005B9C: D89A7380 0000C603
	ds_write_b64 v3, v[200:201] offset:23040                   // 000000005BA4: D89A5A00 0000C803
	ds_write_b64 v3, v[202:203] offset:31744                   // 000000005BAC: D89A7C00 0000CA03
	ds_write_b64 v3, v[204:205] offset:25216                   // 000000005BB4: D89A6280 0000CC03
	ds_write_b64 v3, v[206:207] offset:33920                   // 000000005BBC: D89A8480 0000CE03
	s_mov_b32 s80, 0                                           // 000000005BC4: BED00080
	s_waitcnt vmcnt(0) expcnt(0) lgkmcnt(0)                    // 000000005BC8: BF8C0000

0000000000005bcc <label_0B73>:
	s_waitcnt vmcnt(25) lgkmcnt(0)                             // 000000005BCC: BF8C4079
	s_barrier                                                  // 000000005BD0: BF8A0000
	v_mfma_i32_16x16x32_i8 v[192:195], a[0:1], v[128:129], 0   // 000000005BD4: D3D700C0 0A030100
	ds_read_b32 v64, v4 offset:18688                           // 000000005BDC: D86C4900 40000004
	ds_read_b32 v65, v4 offset:23040                           // 000000005BE4: D86C5A00 41000004
	v_mfma_i32_16x16x32_i8 v[192:195], a[2:3], v[130:131], v[192:195]// 000000005BEC: D3D700C0 0F030502
	buffer_load_dwordx4 a[128:131], v42, s[12:15], 0 offen     // 000000005BF4: E05C1000 8083802A
	v_mfma_i32_16x16x32_i8 v[192:195], a[4:5], v[132:133], v[192:195]// 000000005BFC: D3D700C0 0F030904
	ds_read_b32 v66, v4 offset:18720                           // 000000005C04: D86C4920 42000004
	ds_read_b32 v67, v4 offset:23072                           // 000000005C0C: D86C5A20 43000004
	v_mfma_i32_16x16x32_i8 v[192:195], a[6:7], v[134:135], v[192:195]// 000000005C14: D3D700C0 0F030D06
	v_mfma_i32_16x16x32_i8 v[192:195], a[8:9], v[136:137], v[192:195]// 000000005C1C: D3D700C0 0F031108
	ds_read_b32 v68, v4 offset:18752                           // 000000005C24: D86C4940 44000004
	ds_read_b32 v69, v4 offset:23104                           // 000000005C2C: D86C5A40 45000004
	v_mfma_i32_16x16x32_i8 v[192:195], a[10:11], v[138:139], v[192:195]// 000000005C34: D3D700C0 0F03150A
	buffer_load_dwordx4 a[132:135], v42, s[12:15], 0 offen offset:1024// 000000005C3C: E05C1400 8083842A
	v_mfma_i32_16x16x32_i8 v[192:195], a[12:13], v[140:141], v[192:195]// 000000005C44: D3D700C0 0F03190C
	ds_read_b32 v70, v4 offset:18784                           // 000000005C4C: D86C4960 46000004
	ds_read_b32 v71, v4 offset:23136                           // 000000005C54: D86C5A60 47000004
	v_mfma_i32_16x16x32_i8 v[192:195], a[14:15], v[142:143], v[192:195]// 000000005C5C: D3D700C0 0F031D0E
	v_mfma_i32_16x16x32_i8 v[196:199], a[0:1], v[160:161], 0   // 000000005C64: D3D700C4 0A034100
	ds_read_b32 v72, v4 offset:27392                           // 000000005C6C: D86C6B00 48000004
	ds_read_b32 v73, v4 offset:31744                           // 000000005C74: D86C7C00 49000004
	v_mfma_i32_16x16x32_i8 v[196:199], a[2:3], v[162:163], v[196:199]// 000000005C7C: D3D700C4 0F134502
	buffer_load_dwordx4 a[136:139], v42, s[12:15], 0 offen offset:2048// 000000005C84: E05C1800 8083882A
	v_mfma_i32_16x16x32_i8 v[196:199], a[4:5], v[164:165], v[196:199]// 000000005C8C: D3D700C4 0F134904
	ds_read_b32 v74, v4 offset:27424                           // 000000005C94: D86C6B20 4A000004
	ds_read_b32 v75, v4 offset:31776                           // 000000005C9C: D86C7C20 4B000004
	v_mfma_i32_16x16x32_i8 v[196:199], a[6:7], v[166:167], v[196:199]// 000000005CA4: D3D700C4 0F134D06
	v_mfma_i32_16x16x32_i8 v[196:199], a[8:9], v[168:169], v[196:199]// 000000005CAC: D3D700C4 0F135108
	ds_read_b32 v76, v4 offset:27456                           // 000000005CB4: D86C6B40 4C000004
	ds_read_b32 v77, v4 offset:31808                           // 000000005CBC: D86C7C40 4D000004
	v_mfma_i32_16x16x32_i8 v[196:199], a[10:11], v[170:171], v[196:199]// 000000005CC4: D3D700C4 0F13550A
	buffer_load_dwordx4 a[140:143], v42, s[12:15], 0 offen offset:3072// 000000005CCC: E05C1C00 80838C2A
	v_mfma_i32_16x16x32_i8 v[196:199], a[12:13], v[172:173], v[196:199]// 000000005CD4: D3D700C4 0F13590C
	ds_read_b32 v78, v4 offset:27488                           // 000000005CDC: D86C6B60 4E000004
	ds_read_b32 v79, v4 offset:31840                           // 000000005CE4: D86C7C60 4F000004
	v_mfma_i32_16x16x32_i8 v[196:199], a[14:15], v[174:175], v[196:199]// 000000005CEC: D3D700C4 0F135D0E
	v_mfma_i32_16x16x32_i8 v[200:203], a[16:17], v[128:129], 0 // 000000005CF4: D3D700C8 0A030110
	v_mfma_i32_16x16x32_i8 v[200:203], a[18:19], v[130:131], v[200:203]// 000000005CFC: D3D700C8 0F230512
	buffer_load_dwordx4 a[144:147], v43, s[12:15], 0 offen     // 000000005D04: E05C1000 8083902B
	v_mfma_i32_16x16x32_i8 v[200:203], a[20:21], v[132:133], v[200:203]// 000000005D0C: D3D700C8 0F230914
	v_mfma_i32_16x16x32_i8 v[200:203], a[22:23], v[134:135], v[200:203]// 000000005D14: D3D700C8 0F230D16
	v_mfma_i32_16x16x32_i8 v[200:203], a[24:25], v[136:137], v[200:203]// 000000005D1C: D3D700C8 0F231118
	v_mfma_i32_16x16x32_i8 v[200:203], a[26:27], v[138:139], v[200:203]// 000000005D24: D3D700C8 0F23151A
	buffer_load_dwordx4 a[148:151], v43, s[12:15], 0 offen offset:1024// 000000005D2C: E05C1400 8083942B
	v_mfma_i32_16x16x32_i8 v[200:203], a[28:29], v[140:141], v[200:203]// 000000005D34: D3D700C8 0F23191C
	v_mfma_i32_16x16x32_i8 v[200:203], a[30:31], v[142:143], v[200:203]// 000000005D3C: D3D700C8 0F231D1E
	v_mfma_i32_16x16x32_i8 v[204:207], a[16:17], v[160:161], 0 // 000000005D44: D3D700CC 0A034110
	v_mfma_i32_16x16x32_i8 v[204:207], a[18:19], v[162:163], v[204:207]// 000000005D4C: D3D700CC 0F334512
	buffer_load_dwordx4 a[152:155], v43, s[12:15], 0 offen offset:2048// 000000005D54: E05C1800 8083982B
	v_mfma_i32_16x16x32_i8 v[204:207], a[20:21], v[164:165], v[204:207]// 000000005D5C: D3D700CC 0F334914
	v_mfma_i32_16x16x32_i8 v[204:207], a[22:23], v[166:167], v[204:207]// 000000005D64: D3D700CC 0F334D16
	v_mfma_i32_16x16x32_i8 v[204:207], a[24:25], v[168:169], v[204:207]// 000000005D6C: D3D700CC 0F335118
	v_mfma_i32_16x16x32_i8 v[204:207], a[26:27], v[170:171], v[204:207]// 000000005D74: D3D700CC 0F33551A
	buffer_load_dwordx4 a[156:159], v43, s[12:15], 0 offen offset:3072// 000000005D7C: E05C1C00 80839C2B
	v_mfma_i32_16x16x32_i8 v[204:207], a[28:29], v[172:173], v[204:207]// 000000005D84: D3D700CC 0F33591C
	v_mfma_i32_16x16x32_i8 v[204:207], a[30:31], v[174:175], v[204:207]// 000000005D8C: D3D700CC 0F335D1E
	s_waitcnt vmcnt(25)                                        // 000000005D94: BF8C4F79
	v_mfma_i32_16x16x32_i8 v[208:211], a[32:33], v[128:129], 0 // 000000005D98: D3D700D0 0A030120
	v_mfma_i32_16x16x32_i8 v[208:211], a[34:35], v[130:131], v[208:211]// 000000005DA0: D3D700D0 0F430522
	buffer_load_dwordx4 a[160:163], v44, s[12:15], 0 offen     // 000000005DA8: E05C1000 8083A02C
	v_mfma_i32_16x16x32_i8 v[208:211], a[36:37], v[132:133], v[208:211]// 000000005DB0: D3D700D0 0F430924
	v_mfma_i32_16x16x32_i8 v[208:211], a[38:39], v[134:135], v[208:211]// 000000005DB8: D3D700D0 0F430D26
	v_mfma_i32_16x16x32_i8 v[208:211], a[40:41], v[136:137], v[208:211]// 000000005DC0: D3D700D0 0F431128
	v_mfma_i32_16x16x32_i8 v[208:211], a[42:43], v[138:139], v[208:211]// 000000005DC8: D3D700D0 0F43152A
	buffer_load_dwordx4 a[164:167], v44, s[12:15], 0 offen offset:1024// 000000005DD0: E05C1400 8083A42C
	v_mfma_i32_16x16x32_i8 v[208:211], a[44:45], v[140:141], v[208:211]// 000000005DD8: D3D700D0 0F43192C
	v_mfma_i32_16x16x32_i8 v[208:211], a[46:47], v[142:143], v[208:211]// 000000005DE0: D3D700D0 0F431D2E
	v_mfma_i32_16x16x32_i8 v[212:215], a[32:33], v[160:161], 0 // 000000005DE8: D3D700D4 0A034120
	v_mfma_i32_16x16x32_i8 v[212:215], a[34:35], v[162:163], v[212:215]// 000000005DF0: D3D700D4 0F534522
	buffer_load_dwordx4 a[168:171], v44, s[12:15], 0 offen offset:2048// 000000005DF8: E05C1800 8083A82C
	v_mfma_i32_16x16x32_i8 v[212:215], a[36:37], v[164:165], v[212:215]// 000000005E00: D3D700D4 0F534924
	v_mfma_i32_16x16x32_i8 v[212:215], a[38:39], v[166:167], v[212:215]// 000000005E08: D3D700D4 0F534D26
	v_mfma_i32_16x16x32_i8 v[212:215], a[40:41], v[168:169], v[212:215]// 000000005E10: D3D700D4 0F535128
	v_mfma_i32_16x16x32_i8 v[212:215], a[42:43], v[170:171], v[212:215]// 000000005E18: D3D700D4 0F53552A
	buffer_load_dwordx4 a[172:175], v44, s[12:15], 0 offen offset:3072// 000000005E20: E05C1C00 8083AC2C
	v_mfma_i32_16x16x32_i8 v[212:215], a[44:45], v[172:173], v[212:215]// 000000005E28: D3D700D4 0F53592C
	v_mfma_i32_16x16x32_i8 v[212:215], a[46:47], v[174:175], v[212:215]// 000000005E30: D3D700D4 0F535D2E
	v_mfma_i32_16x16x32_i8 v[216:219], a[48:49], v[128:129], 0 // 000000005E38: D3D700D8 0A030130
	v_mfma_i32_16x16x32_i8 v[216:219], a[50:51], v[130:131], v[216:219]// 000000005E40: D3D700D8 0F630532
	buffer_load_dwordx4 a[176:179], v45, s[12:15], 0 offen     // 000000005E48: E05C1000 8083B02D
	v_mfma_i32_16x16x32_i8 v[216:219], a[52:53], v[132:133], v[216:219]// 000000005E50: D3D700D8 0F630934
	v_mfma_i32_16x16x32_i8 v[216:219], a[54:55], v[134:135], v[216:219]// 000000005E58: D3D700D8 0F630D36
	v_mfma_i32_16x16x32_i8 v[216:219], a[56:57], v[136:137], v[216:219]// 000000005E60: D3D700D8 0F631138
	v_mfma_i32_16x16x32_i8 v[216:219], a[58:59], v[138:139], v[216:219]// 000000005E68: D3D700D8 0F63153A
	buffer_load_dwordx4 a[180:183], v45, s[12:15], 0 offen offset:1024// 000000005E70: E05C1400 8083B42D
	v_mfma_i32_16x16x32_i8 v[216:219], a[60:61], v[140:141], v[216:219]// 000000005E78: D3D700D8 0F63193C
	v_mfma_i32_16x16x32_i8 v[216:219], a[62:63], v[142:143], v[216:219]// 000000005E80: D3D700D8 0F631D3E
	v_mfma_i32_16x16x32_i8 v[220:223], a[48:49], v[160:161], 0 // 000000005E88: D3D700DC 0A034130
	v_mfma_i32_16x16x32_i8 v[220:223], a[50:51], v[162:163], v[220:223]// 000000005E90: D3D700DC 0F734532
	buffer_load_dwordx4 a[184:187], v45, s[12:15], 0 offen offset:2048// 000000005E98: E05C1800 8083B82D
	v_mfma_i32_16x16x32_i8 v[220:223], a[52:53], v[164:165], v[220:223]// 000000005EA0: D3D700DC 0F734934
	v_mfma_i32_16x16x32_i8 v[220:223], a[54:55], v[166:167], v[220:223]// 000000005EA8: D3D700DC 0F734D36
	v_mfma_i32_16x16x32_i8 v[220:223], a[56:57], v[168:169], v[220:223]// 000000005EB0: D3D700DC 0F735138
	v_mfma_i32_16x16x32_i8 v[220:223], a[58:59], v[170:171], v[220:223]// 000000005EB8: D3D700DC 0F73553A
	buffer_load_dwordx4 a[188:191], v45, s[12:15], 0 offen offset:3072// 000000005EC0: E05C1C00 8083BC2D
	s_add_u32 s12, s78, s12                                    // 000000005EC8: 800C0C4E
	s_addc_u32 s13, 0, s13                                     // 000000005ECC: 820D0D80
	v_mfma_i32_16x16x32_i8 v[220:223], a[60:61], v[172:173], v[220:223]// 000000005ED0: D3D700DC 0F73593C
	v_mfma_i32_16x16x32_i8 v[220:223], a[62:63], v[174:175], v[220:223]// 000000005ED8: D3D700DC 0F735D3E
	s_waitcnt vmcnt(25)                                        // 000000005EE0: BF8C4F79
	v_mfma_i32_16x16x32_i8 v[192:195], a[64:65], v[144:145], v[192:195]// 000000005EE4: D3D700C0 0F032140
	ds_write_b64 v3, v[224:225] offset:36096                   // 000000005EEC: D89A8D00 0000E003
	v_mfma_i32_16x16x32_i8 v[192:195], a[66:67], v[146:147], v[192:195]// 000000005EF4: D3D700C0 0F032542
	buffer_load_dwordx4 a[192:195], v42, s[12:15], 0 offen     // 000000005EFC: E05C1000 8083C02A
	v_mfma_i32_16x16x32_i8 v[192:195], a[68:69], v[148:149], v[192:195]// 000000005F04: D3D700C0 0F032944
	ds_write_b64 v3, v[226:227] offset:44800                   // 000000005F0C: D89AAF00 0000E203
	v_mfma_i32_16x16x32_i8 v[192:195], a[70:71], v[150:151], v[192:195]// 000000005F14: D3D700C0 0F032D46
	v_mfma_i32_16x16x32_i8 v[192:195], a[72:73], v[152:153], v[192:195]// 000000005F1C: D3D700C0 0F033148
	ds_write_b64 v3, v[228:229] offset:38272                   // 000000005F24: D89A9580 0000E403
	v_mfma_i32_16x16x32_i8 v[192:195], a[74:75], v[154:155], v[192:195]// 000000005F2C: D3D700C0 0F03354A
	buffer_load_dwordx4 a[196:199], v42, s[12:15], 0 offen offset:1024// 000000005F34: E05C1400 8083C42A
	v_mfma_i32_16x16x32_i8 v[192:195], a[76:77], v[156:157], v[192:195]// 000000005F3C: D3D700C0 0F03394C
	ds_write_b64 v3, v[230:231] offset:46976                   // 000000005F44: D89AB780 0000E603
	v_mfma_i32_16x16x32_i8 v[192:195], a[78:79], v[158:159], v[192:195]// 000000005F4C: D3D700C0 0F033D4E
	v_mfma_i32_16x16x32_i8 v[196:199], a[64:65], v[176:177], v[196:199]// 000000005F54: D3D700C4 0F136140
	ds_write_b64 v3, v[232:233] offset:40448                   // 000000005F5C: D89A9E00 0000E803
	v_mfma_i32_16x16x32_i8 v[196:199], a[66:67], v[178:179], v[196:199]// 000000005F64: D3D700C4 0F136542
	buffer_load_dwordx4 a[200:203], v42, s[12:15], 0 offen offset:2048// 000000005F6C: E05C1800 8083C82A
	v_mfma_i32_16x16x32_i8 v[196:199], a[68:69], v[180:181], v[196:199]// 000000005F74: D3D700C4 0F136944
	ds_write_b64 v3, v[234:235] offset:49152                   // 000000005F7C: D89AC000 0000EA03
	v_mfma_i32_16x16x32_i8 v[196:199], a[70:71], v[182:183], v[196:199]// 000000005F84: D3D700C4 0F136D46
	v_mfma_i32_16x16x32_i8 v[196:199], a[72:73], v[184:185], v[196:199]// 000000005F8C: D3D700C4 0F137148
	ds_write_b64 v3, v[236:237] offset:42624                   // 000000005F94: D89AA680 0000EC03
	v_mfma_i32_16x16x32_i8 v[196:199], a[74:75], v[186:187], v[196:199]// 000000005F9C: D3D700C4 0F13754A
	buffer_load_dwordx4 a[204:207], v42, s[12:15], 0 offen offset:3072// 000000005FA4: E05C1C00 8083CC2A
	v_mfma_i32_16x16x32_i8 v[196:199], a[76:77], v[188:189], v[196:199]// 000000005FAC: D3D700C4 0F13794C
	ds_write_b64 v3, v[238:239] offset:51328                   // 000000005FB4: D89AC880 0000EE03
	v_mfma_i32_16x16x32_i8 v[196:199], a[78:79], v[190:191], v[196:199]// 000000005FBC: D3D700C4 0F137D4E
	v_mfma_i32_16x16x32_i8 v[200:203], a[80:81], v[144:145], v[200:203]// 000000005FC4: D3D700C8 0F232150
	v_mfma_i32_16x16x32_i8 v[200:203], a[82:83], v[146:147], v[200:203]// 000000005FCC: D3D700C8 0F232552
	buffer_load_dwordx4 a[208:211], v43, s[12:15], 0 offen     // 000000005FD4: E05C1000 8083D02B
	v_mfma_i32_16x16x32_i8 v[200:203], a[84:85], v[148:149], v[200:203]// 000000005FDC: D3D700C8 0F232954
	v_mfma_i32_16x16x32_i8 v[200:203], a[86:87], v[150:151], v[200:203]// 000000005FE4: D3D700C8 0F232D56
	v_mfma_i32_16x16x32_i8 v[200:203], a[88:89], v[152:153], v[200:203]// 000000005FEC: D3D700C8 0F233158
	v_mfma_i32_16x16x32_i8 v[200:203], a[90:91], v[154:155], v[200:203]// 000000005FF4: D3D700C8 0F23355A
	buffer_load_dwordx4 a[212:215], v43, s[12:15], 0 offen offset:1024// 000000005FFC: E05C1400 8083D42B
	v_mfma_i32_16x16x32_i8 v[200:203], a[92:93], v[156:157], v[200:203]// 000000006004: D3D700C8 0F23395C
	v_mfma_i32_16x16x32_i8 v[200:203], a[94:95], v[158:159], v[200:203]// 00000000600C: D3D700C8 0F233D5E
	v_mfma_i32_16x16x32_i8 v[204:207], a[80:81], v[176:177], v[204:207]// 000000006014: D3D700CC 0F336150
	v_mfma_i32_16x16x32_i8 v[204:207], a[82:83], v[178:179], v[204:207]// 00000000601C: D3D700CC 0F336552
	buffer_load_dwordx4 a[216:219], v43, s[12:15], 0 offen offset:2048// 000000006024: E05C1800 8083D82B
	v_mfma_i32_16x16x32_i8 v[204:207], a[84:85], v[180:181], v[204:207]// 00000000602C: D3D700CC 0F336954
	v_mfma_i32_16x16x32_i8 v[204:207], a[86:87], v[182:183], v[204:207]// 000000006034: D3D700CC 0F336D56
	v_mfma_i32_16x16x32_i8 v[204:207], a[88:89], v[184:185], v[204:207]// 00000000603C: D3D700CC 0F337158
	v_mfma_i32_16x16x32_i8 v[204:207], a[90:91], v[186:187], v[204:207]// 000000006044: D3D700CC 0F33755A
	buffer_load_dwordx4 a[220:223], v43, s[12:15], 0 offen offset:3072// 00000000604C: E05C1C00 8083DC2B
	v_mfma_i32_16x16x32_i8 v[204:207], a[92:93], v[188:189], v[204:207]// 000000006054: D3D700CC 0F33795C
	v_mfma_i32_16x16x32_i8 v[204:207], a[94:95], v[190:191], v[204:207]// 00000000605C: D3D700CC 0F337D5E
	s_waitcnt vmcnt(24)                                        // 000000006064: BF8C4F78
	v_mfma_i32_16x16x32_i8 v[208:211], a[96:97], v[144:145], v[208:211]// 000000006068: D3D700D0 0F432160
	v_mfma_i32_16x16x32_i8 v[208:211], a[98:99], v[146:147], v[208:211]// 000000006070: D3D700D0 0F432562
	buffer_load_dwordx4 a[224:227], v44, s[12:15], 0 offen     // 000000006078: E05C1000 8083E02C
	v_mfma_i32_16x16x32_i8 v[208:211], a[100:101], v[148:149], v[208:211]// 000000006080: D3D700D0 0F432964
	v_mfma_i32_16x16x32_i8 v[208:211], a[102:103], v[150:151], v[208:211]// 000000006088: D3D700D0 0F432D66
	buffer_load_dword v13, v5, s[16:19], 0 offen               // 000000006090: E0501000 80040D05
	v_mfma_i32_16x16x32_i8 v[208:211], a[104:105], v[152:153], v[208:211]// 000000006098: D3D700D0 0F433168
	v_mfma_i32_16x16x32_i8 v[208:211], a[106:107], v[154:155], v[208:211]// 0000000060A0: D3D700D0 0F43356A
	buffer_load_dwordx4 a[228:231], v44, s[12:15], 0 offen offset:1024// 0000000060A8: E05C1400 8083E42C
	v_mfma_i32_16x16x32_i8 v[208:211], a[108:109], v[156:157], v[208:211]// 0000000060B0: D3D700D0 0F43396C
	v_mfma_i32_16x16x32_i8 v[208:211], a[110:111], v[158:159], v[208:211]// 0000000060B8: D3D700D0 0F433D6E
	v_mfma_i32_16x16x32_i8 v[212:215], a[96:97], v[176:177], v[212:215]// 0000000060C0: D3D700D4 0F536160
	v_mfma_i32_16x16x32_i8 v[212:215], a[98:99], v[178:179], v[212:215]// 0000000060C8: D3D700D4 0F536562
	buffer_load_dwordx4 a[232:235], v44, s[12:15], 0 offen offset:2048// 0000000060D0: E05C1800 8083E82C
	v_mfma_i32_16x16x32_i8 v[212:215], a[100:101], v[180:181], v[212:215]// 0000000060D8: D3D700D4 0F536964
	s_add_u32 s60, 0x200, s80                                  // 0000000060E0: 803C50FF 00000200
	s_cmp_lt_u32 s60, s81                                      // 0000000060E8: BF0A513C
	v_mfma_i32_16x16x32_i8 v[212:215], a[102:103], v[182:183], v[212:215]// 0000000060EC: D3D700D4 0F536D66
	s_cselect_b32 s56, s56, 0                                  // 0000000060F4: 85388038
	s_cselect_b32 s78, s78, 0                                  // 0000000060F8: 854E804E
	s_cselect_b32 s79, s79, 0                                  // 0000000060FC: 854F804F
	v_mfma_i32_16x16x32_i8 v[212:215], a[104:105], v[184:185], v[212:215]// 000000006100: D3D700D4 0F537168
	v_mfma_i32_16x16x32_i8 v[212:215], a[106:107], v[186:187], v[212:215]// 000000006108: D3D700D4 0F53756A
	buffer_load_dwordx4 a[236:239], v44, s[12:15], 0 offen offset:3072// 000000006110: E05C1C00 8083EC2C
	v_mfma_i32_16x16x32_i8 v[212:215], a[108:109], v[188:189], v[212:215]// 000000006118: D3D700D4 0F53796C
	s_add_u32 s16, s79, s16                                    // 000000006120: 8010104F
	s_addc_u32 s17, 0, s17                                     // 000000006124: 82111180
	v_mfma_i32_16x16x32_i8 v[212:215], a[110:111], v[190:191], v[212:215]// 000000006128: D3D700D4 0F537D6E
	v_mfma_i32_16x16x32_i8 v[216:219], a[112:113], v[144:145], v[216:219]// 000000006130: D3D700D8 0F632170
	v_mfma_i32_16x16x32_i8 v[216:219], a[114:115], v[146:147], v[216:219]// 000000006138: D3D700D8 0F632572
	buffer_load_dwordx4 a[240:243], v45, s[12:15], 0 offen     // 000000006140: E05C1000 8083F02D
	v_mfma_i32_16x16x32_i8 v[216:219], a[116:117], v[148:149], v[216:219]// 000000006148: D3D700D8 0F632974
	v_mfma_i32_16x16x32_i8 v[216:219], a[118:119], v[150:151], v[216:219]// 000000006150: D3D700D8 0F632D76
	v_mfma_i32_16x16x32_i8 v[216:219], a[120:121], v[152:153], v[216:219]// 000000006158: D3D700D8 0F633178
	v_mfma_i32_16x16x32_i8 v[216:219], a[122:123], v[154:155], v[216:219]// 000000006160: D3D700D8 0F63357A
	buffer_load_dwordx4 a[244:247], v45, s[12:15], 0 offen offset:1024// 000000006168: E05C1400 8083F42D
	v_mfma_i32_16x16x32_i8 v[216:219], a[124:125], v[156:157], v[216:219]// 000000006170: D3D700D8 0F63397C
	v_mfma_i32_16x16x32_i8 v[216:219], a[126:127], v[158:159], v[216:219]// 000000006178: D3D700D8 0F633D7E
	v_mfma_i32_16x16x32_i8 v[220:223], a[112:113], v[176:177], v[220:223]// 000000006180: D3D700DC 0F736170
	v_mfma_i32_16x16x32_i8 v[220:223], a[114:115], v[178:179], v[220:223]// 000000006188: D3D700DC 0F736572
	buffer_load_dwordx4 a[248:251], v45, s[12:15], 0 offen offset:2048// 000000006190: E05C1800 8083F82D
	v_mfma_i32_16x16x32_i8 v[220:223], a[116:117], v[180:181], v[220:223]// 000000006198: D3D700DC 0F736974
	v_mfma_i32_16x16x32_i8 v[220:223], a[118:119], v[182:183], v[220:223]// 0000000061A0: D3D700DC 0F736D76
	v_mfma_i32_16x16x32_i8 v[220:223], a[120:121], v[184:185], v[220:223]// 0000000061A8: D3D700DC 0F737178
	v_mfma_i32_16x16x32_i8 v[220:223], a[122:123], v[186:187], v[220:223]// 0000000061B0: D3D700DC 0F73757A
	buffer_load_dwordx4 a[252:255], v45, s[12:15], 0 offen offset:3072// 0000000061B8: E05C1C00 8083FC2D
	v_mfma_i32_16x16x32_i8 v[220:223], a[124:125], v[188:189], v[220:223]// 0000000061C0: D3D700DC 0F73797C
	s_add_u32 s12, s56, s12                                    // 0000000061C8: 800C0C38
	s_addc_u32 s13, 0, s13                                     // 0000000061CC: 820D0D80
	v_mfma_i32_16x16x32_i8 v[220:223], a[126:127], v[190:191], v[220:223]// 0000000061D0: D3D700DC 0F737D7E
	v_mov_b32_e32 v96, v24                                     // 0000000061D8: 7EC00318
	v_mov_b32_e32 v100, v20                                    // 0000000061DC: 7EC80314
	v_mov_b32_e32 v97, v24                                     // 0000000061E0: 7EC20318
	v_mov_b32_e32 v101, v20                                    // 0000000061E4: 7ECA0314
	v_mov_b32_e32 v98, v25                                     // 0000000061E8: 7EC40319
	v_mov_b32_e32 v102, v21                                    // 0000000061EC: 7ECC0315
	v_mov_b32_e32 v99, v25                                     // 0000000061F0: 7EC60319
	v_mov_b32_e32 v103, v21                                    // 0000000061F4: 7ECE0315
	v_cvt_f32_i32_e32 v192, v192                               // 0000000061F8: 7F800BC0
	v_cvt_f32_i32_e32 v193, v193                               // 0000000061FC: 7F820BC1
	v_cvt_f32_i32_e32 v194, v194                               // 000000006200: 7F840BC2
	v_cvt_f32_i32_e32 v195, v195                               // 000000006204: 7F860BC3
	v_pk_mul_f32 v[192:193], v[96:97], v[192:193]              // 000000006208: D3B140C0 18038160
	v_pk_mul_f32 v[194:195], v[96:97], v[194:195]              // 000000006210: D3B140C2 18038560
	v_mul_f32_dpp v192, v12, v192 row_newbcast:0 row_mask:0xf bank_mask:0xf// 000000006218: 0B8180FA FF01500C
	v_mul_f32_dpp v193, v12, v193 row_newbcast:1 row_mask:0xf bank_mask:0xf// 000000006220: 0B8382FA FF01510C
	v_mul_f32_dpp v194, v12, v194 row_newbcast:2 row_mask:0xf bank_mask:0xf// 000000006228: 0B8584FA FF01520C
	v_mul_f32_dpp v195, v12, v195 row_newbcast:3 row_mask:0xf bank_mask:0xf// 000000006230: 0B8786FA FF01530C
	v_pk_mul_f32 v[192:193], v[100:101], v[192:193]            // 000000006238: D3B140C0 18038164
	v_pk_mul_f32 v[194:195], v[100:101], v[194:195]            // 000000006240: D3B140C2 18038564
	v_cvt_f32_i32_e32 v196, v196                               // 000000006248: 7F880BC4
	v_cvt_f32_i32_e32 v197, v197                               // 00000000624C: 7F8A0BC5
	v_cvt_f32_i32_e32 v198, v198                               // 000000006250: 7F8C0BC6
	v_cvt_f32_i32_e32 v199, v199                               // 000000006254: 7F8E0BC7
	v_pk_mul_f32 v[196:197], v[98:99], v[196:197]              // 000000006258: D3B140C4 18038962
	v_pk_mul_f32 v[198:199], v[98:99], v[198:199]              // 000000006260: D3B140C6 18038D62
	v_mul_f32_dpp v196, v12, v196 row_newbcast:0 row_mask:0xf bank_mask:0xf// 000000006268: 0B8988FA FF01500C
	v_mul_f32_dpp v197, v12, v197 row_newbcast:1 row_mask:0xf bank_mask:0xf// 000000006270: 0B8B8AFA FF01510C
	v_mul_f32_dpp v198, v12, v198 row_newbcast:2 row_mask:0xf bank_mask:0xf// 000000006278: 0B8D8CFA FF01520C
	v_mul_f32_dpp v199, v12, v199 row_newbcast:3 row_mask:0xf bank_mask:0xf// 000000006280: 0B8F8EFA FF01530C
	v_pk_mul_f32 v[196:197], v[102:103], v[196:197]            // 000000006288: D3B140C4 18038966
	v_pk_mul_f32 v[198:199], v[102:103], v[198:199]            // 000000006290: D3B140C6 18038D66
	v_cvt_f32_i32_e32 v200, v200                               // 000000006298: 7F900BC8
	v_cvt_f32_i32_e32 v201, v201                               // 00000000629C: 7F920BC9
	v_cvt_f32_i32_e32 v202, v202                               // 0000000062A0: 7F940BCA
	v_cvt_f32_i32_e32 v203, v203                               // 0000000062A4: 7F960BCB
	v_pk_mul_f32 v[200:201], v[96:97], v[200:201]              // 0000000062A8: D3B140C8 18039160
	v_pk_mul_f32 v[202:203], v[96:97], v[202:203]              // 0000000062B0: D3B140CA 18039560
	v_mul_f32_dpp v200, v12, v200 row_newbcast:4 row_mask:0xf bank_mask:0xf// 0000000062B8: 0B9190FA FF01540C
	v_mul_f32_dpp v201, v12, v201 row_newbcast:5 row_mask:0xf bank_mask:0xf// 0000000062C0: 0B9392FA FF01550C
	v_mul_f32_dpp v202, v12, v202 row_newbcast:6 row_mask:0xf bank_mask:0xf// 0000000062C8: 0B9594FA FF01560C
	v_mul_f32_dpp v203, v12, v203 row_newbcast:7 row_mask:0xf bank_mask:0xf// 0000000062D0: 0B9796FA FF01570C
	v_pk_mul_f32 v[200:201], v[100:101], v[200:201]            // 0000000062D8: D3B140C8 18039164
	v_pk_mul_f32 v[202:203], v[100:101], v[202:203]            // 0000000062E0: D3B140CA 18039564
	v_cvt_f32_i32_e32 v204, v204                               // 0000000062E8: 7F980BCC
	v_cvt_f32_i32_e32 v205, v205                               // 0000000062EC: 7F9A0BCD
	v_cvt_f32_i32_e32 v206, v206                               // 0000000062F0: 7F9C0BCE
	v_cvt_f32_i32_e32 v207, v207                               // 0000000062F4: 7F9E0BCF
	v_pk_mul_f32 v[204:205], v[98:99], v[204:205]              // 0000000062F8: D3B140CC 18039962
	v_pk_mul_f32 v[206:207], v[98:99], v[206:207]              // 000000006300: D3B140CE 18039D62
	v_mul_f32_dpp v204, v12, v204 row_newbcast:4 row_mask:0xf bank_mask:0xf// 000000006308: 0B9998FA FF01540C
	v_mul_f32_dpp v205, v12, v205 row_newbcast:5 row_mask:0xf bank_mask:0xf// 000000006310: 0B9B9AFA FF01550C
	v_mul_f32_dpp v206, v12, v206 row_newbcast:6 row_mask:0xf bank_mask:0xf// 000000006318: 0B9D9CFA FF01560C
	v_mul_f32_dpp v207, v12, v207 row_newbcast:7 row_mask:0xf bank_mask:0xf// 000000006320: 0B9F9EFA FF01570C
	v_pk_mul_f32 v[204:205], v[102:103], v[204:205]            // 000000006328: D3B140CC 18039966
	v_pk_mul_f32 v[206:207], v[102:103], v[206:207]            // 000000006330: D3B140CE 18039D66
	v_cvt_f32_i32_e32 v208, v208                               // 000000006338: 7FA00BD0
	v_cvt_f32_i32_e32 v209, v209                               // 00000000633C: 7FA20BD1
	v_cvt_f32_i32_e32 v210, v210                               // 000000006340: 7FA40BD2
	v_cvt_f32_i32_e32 v211, v211                               // 000000006344: 7FA60BD3
	v_pk_mul_f32 v[208:209], v[96:97], v[208:209]              // 000000006348: D3B140D0 1803A160
	v_pk_mul_f32 v[210:211], v[96:97], v[210:211]              // 000000006350: D3B140D2 1803A560
	v_mul_f32_dpp v208, v12, v208 row_newbcast:8 row_mask:0xf bank_mask:0xf// 000000006358: 0BA1A0FA FF01580C
	v_mul_f32_dpp v209, v12, v209 row_newbcast:9 row_mask:0xf bank_mask:0xf// 000000006360: 0BA3A2FA FF01590C
	v_mul_f32_dpp v210, v12, v210 row_newbcast:10 row_mask:0xf bank_mask:0xf// 000000006368: 0BA5A4FA FF015A0C
	v_mul_f32_dpp v211, v12, v211 row_newbcast:11 row_mask:0xf bank_mask:0xf// 000000006370: 0BA7A6FA FF015B0C
	v_pk_mul_f32 v[208:209], v[100:101], v[208:209]            // 000000006378: D3B140D0 1803A164
	v_pk_mul_f32 v[210:211], v[100:101], v[210:211]            // 000000006380: D3B140D2 1803A564
	v_cvt_f32_i32_e32 v212, v212                               // 000000006388: 7FA80BD4
	v_cvt_f32_i32_e32 v213, v213                               // 00000000638C: 7FAA0BD5
	v_cvt_f32_i32_e32 v214, v214                               // 000000006390: 7FAC0BD6
	v_cvt_f32_i32_e32 v215, v215                               // 000000006394: 7FAE0BD7
	v_pk_mul_f32 v[212:213], v[98:99], v[212:213]              // 000000006398: D3B140D4 1803A962
	v_pk_mul_f32 v[214:215], v[98:99], v[214:215]              // 0000000063A0: D3B140D6 1803AD62
	v_mul_f32_dpp v212, v12, v212 row_newbcast:8 row_mask:0xf bank_mask:0xf// 0000000063A8: 0BA9A8FA FF01580C
	v_mul_f32_dpp v213, v12, v213 row_newbcast:9 row_mask:0xf bank_mask:0xf// 0000000063B0: 0BABAAFA FF01590C
	v_mul_f32_dpp v214, v12, v214 row_newbcast:10 row_mask:0xf bank_mask:0xf// 0000000063B8: 0BADACFA FF015A0C
	v_mul_f32_dpp v215, v12, v215 row_newbcast:11 row_mask:0xf bank_mask:0xf// 0000000063C0: 0BAFAEFA FF015B0C
	v_pk_mul_f32 v[212:213], v[102:103], v[212:213]            // 0000000063C8: D3B140D4 1803A966
	v_pk_mul_f32 v[214:215], v[102:103], v[214:215]            // 0000000063D0: D3B140D6 1803AD66
	v_cvt_f32_i32_e32 v216, v216                               // 0000000063D8: 7FB00BD8
	v_cvt_f32_i32_e32 v217, v217                               // 0000000063DC: 7FB20BD9
	v_cvt_f32_i32_e32 v218, v218                               // 0000000063E0: 7FB40BDA
	v_cvt_f32_i32_e32 v219, v219                               // 0000000063E4: 7FB60BDB
	v_pk_mul_f32 v[216:217], v[96:97], v[216:217]              // 0000000063E8: D3B140D8 1803B160
	v_pk_mul_f32 v[218:219], v[96:97], v[218:219]              // 0000000063F0: D3B140DA 1803B560
	v_mul_f32_dpp v216, v12, v216 row_newbcast:12 row_mask:0xf bank_mask:0xf// 0000000063F8: 0BB1B0FA FF015C0C
	v_mul_f32_dpp v217, v12, v217 row_newbcast:13 row_mask:0xf bank_mask:0xf// 000000006400: 0BB3B2FA FF015D0C
	v_mul_f32_dpp v218, v12, v218 row_newbcast:14 row_mask:0xf bank_mask:0xf// 000000006408: 0BB5B4FA FF015E0C
	v_mul_f32_dpp v219, v12, v219 row_newbcast:15 row_mask:0xf bank_mask:0xf// 000000006410: 0BB7B6FA FF015F0C
	v_pk_mul_f32 v[216:217], v[100:101], v[216:217]            // 000000006418: D3B140D8 1803B164
	v_pk_mul_f32 v[218:219], v[100:101], v[218:219]            // 000000006420: D3B140DA 1803B564
	v_cvt_f32_i32_e32 v220, v220                               // 000000006428: 7FB80BDC
	v_cvt_f32_i32_e32 v221, v221                               // 00000000642C: 7FBA0BDD
	v_cvt_f32_i32_e32 v222, v222                               // 000000006430: 7FBC0BDE
	v_cvt_f32_i32_e32 v223, v223                               // 000000006434: 7FBE0BDF
	v_pk_mul_f32 v[220:221], v[98:99], v[220:221]              // 000000006438: D3B140DC 1803B962
	v_pk_mul_f32 v[222:223], v[98:99], v[222:223]              // 000000006440: D3B140DE 1803BD62
	v_mul_f32_dpp v220, v12, v220 row_newbcast:12 row_mask:0xf bank_mask:0xf// 000000006448: 0BB9B8FA FF015C0C
	v_mul_f32_dpp v221, v12, v221 row_newbcast:13 row_mask:0xf bank_mask:0xf// 000000006450: 0BBBBAFA FF015D0C
	v_mul_f32_dpp v222, v12, v222 row_newbcast:14 row_mask:0xf bank_mask:0xf// 000000006458: 0BBDBCFA FF015E0C
	v_mul_f32_dpp v223, v12, v223 row_newbcast:15 row_mask:0xf bank_mask:0xf// 000000006460: 0BBFBEFA FF015F0C
	v_pk_mul_f32 v[220:221], v[102:103], v[220:221]            // 000000006468: D3B140DC 1803B966
	v_pk_mul_f32 v[222:223], v[102:103], v[222:223]            // 000000006470: D3B140DE 1803BD66
	v_cmp_u_f32_e64 s[48:49], v192, v192                       // 000000006478: D0480030 000381C0
	v_add3_u32 v50, v192, v53, 1                               // 000000006480: D1FF0032 02066BC0
	v_cndmask_b32_e64 v54, v50, v52, s[48:49]                  // 000000006488: D1000036 00C26932
	v_cmp_u_f32_e64 s[48:49], v193, v193                       // 000000006490: D0480030 000383C1
	v_add3_u32 v50, v193, v53, 1                               // 000000006498: D1FF0032 02066BC1
	v_cndmask_b32_e64 v55, v50, v52, s[48:49]                  // 0000000064A0: D1000037 00C26932
	v_perm_b32 v192, v55, v54, s52                             // 0000000064A8: D1ED00C0 00D26D37
	v_cmp_u_f32_e64 s[48:49], v194, v194                       // 0000000064B0: D0480030 000385C2
	v_add3_u32 v50, v194, v53, 1                               // 0000000064B8: D1FF0032 02066BC2
	v_cndmask_b32_e64 v54, v50, v52, s[48:49]                  // 0000000064C0: D1000036 00C26932
	v_cmp_u_f32_e64 s[48:49], v195, v195                       // 0000000064C8: D0480030 000387C3
	v_add3_u32 v50, v195, v53, 1                               // 0000000064D0: D1FF0032 02066BC3
	v_cndmask_b32_e64 v55, v50, v52, s[48:49]                  // 0000000064D8: D1000037 00C26932
	v_perm_b32 v193, v55, v54, s52                             // 0000000064E0: D1ED00C1 00D26D37
	v_cmp_u_f32_e64 s[48:49], v196, v196                       // 0000000064E8: D0480030 000389C4
	v_add3_u32 v50, v196, v53, 1                               // 0000000064F0: D1FF0032 02066BC4
	v_cndmask_b32_e64 v54, v50, v52, s[48:49]                  // 0000000064F8: D1000036 00C26932
	v_cmp_u_f32_e64 s[48:49], v197, v197                       // 000000006500: D0480030 00038BC5
	v_add3_u32 v50, v197, v53, 1                               // 000000006508: D1FF0032 02066BC5
	v_cndmask_b32_e64 v55, v50, v52, s[48:49]                  // 000000006510: D1000037 00C26932
	v_perm_b32 v194, v55, v54, s52                             // 000000006518: D1ED00C2 00D26D37
	v_cmp_u_f32_e64 s[48:49], v198, v198                       // 000000006520: D0480030 00038DC6
	v_add3_u32 v50, v198, v53, 1                               // 000000006528: D1FF0032 02066BC6
	v_cndmask_b32_e64 v54, v50, v52, s[48:49]                  // 000000006530: D1000036 00C26932
	v_cmp_u_f32_e64 s[48:49], v199, v199                       // 000000006538: D0480030 00038FC7
	v_add3_u32 v50, v199, v53, 1                               // 000000006540: D1FF0032 02066BC7
	v_cndmask_b32_e64 v55, v50, v52, s[48:49]                  // 000000006548: D1000037 00C26932
	v_perm_b32 v195, v55, v54, s52                             // 000000006550: D1ED00C3 00D26D37
	v_cmp_u_f32_e64 s[48:49], v200, v200                       // 000000006558: D0480030 000391C8
	v_add3_u32 v50, v200, v53, 1                               // 000000006560: D1FF0032 02066BC8
	v_cndmask_b32_e64 v54, v50, v52, s[48:49]                  // 000000006568: D1000036 00C26932
	v_cmp_u_f32_e64 s[48:49], v201, v201                       // 000000006570: D0480030 000393C9
	v_add3_u32 v50, v201, v53, 1                               // 000000006578: D1FF0032 02066BC9
	v_cndmask_b32_e64 v55, v50, v52, s[48:49]                  // 000000006580: D1000037 00C26932
	v_perm_b32 v196, v55, v54, s52                             // 000000006588: D1ED00C4 00D26D37
	v_cmp_u_f32_e64 s[48:49], v202, v202                       // 000000006590: D0480030 000395CA
	v_add3_u32 v50, v202, v53, 1                               // 000000006598: D1FF0032 02066BCA
	v_cndmask_b32_e64 v54, v50, v52, s[48:49]                  // 0000000065A0: D1000036 00C26932
	v_cmp_u_f32_e64 s[48:49], v203, v203                       // 0000000065A8: D0480030 000397CB
	v_add3_u32 v50, v203, v53, 1                               // 0000000065B0: D1FF0032 02066BCB
	v_cndmask_b32_e64 v55, v50, v52, s[48:49]                  // 0000000065B8: D1000037 00C26932
	v_perm_b32 v197, v55, v54, s52                             // 0000000065C0: D1ED00C5 00D26D37
	v_cmp_u_f32_e64 s[48:49], v204, v204                       // 0000000065C8: D0480030 000399CC
	v_add3_u32 v50, v204, v53, 1                               // 0000000065D0: D1FF0032 02066BCC
	v_cndmask_b32_e64 v54, v50, v52, s[48:49]                  // 0000000065D8: D1000036 00C26932
	v_cmp_u_f32_e64 s[48:49], v205, v205                       // 0000000065E0: D0480030 00039BCD
	v_add3_u32 v50, v205, v53, 1                               // 0000000065E8: D1FF0032 02066BCD
	v_cndmask_b32_e64 v55, v50, v52, s[48:49]                  // 0000000065F0: D1000037 00C26932
	v_perm_b32 v198, v55, v54, s52                             // 0000000065F8: D1ED00C6 00D26D37
	v_cmp_u_f32_e64 s[48:49], v206, v206                       // 000000006600: D0480030 00039DCE
	v_add3_u32 v50, v206, v53, 1                               // 000000006608: D1FF0032 02066BCE
	v_cndmask_b32_e64 v54, v50, v52, s[48:49]                  // 000000006610: D1000036 00C26932
	v_cmp_u_f32_e64 s[48:49], v207, v207                       // 000000006618: D0480030 00039FCF
	v_add3_u32 v50, v207, v53, 1                               // 000000006620: D1FF0032 02066BCF
	v_cndmask_b32_e64 v55, v50, v52, s[48:49]                  // 000000006628: D1000037 00C26932
	v_perm_b32 v199, v55, v54, s52                             // 000000006630: D1ED00C7 00D26D37
	v_cmp_u_f32_e64 s[48:49], v208, v208                       // 000000006638: D0480030 0003A1D0
	v_add3_u32 v50, v208, v53, 1                               // 000000006640: D1FF0032 02066BD0
	v_cndmask_b32_e64 v54, v50, v52, s[48:49]                  // 000000006648: D1000036 00C26932
	v_cmp_u_f32_e64 s[48:49], v209, v209                       // 000000006650: D0480030 0003A3D1
	v_add3_u32 v50, v209, v53, 1                               // 000000006658: D1FF0032 02066BD1
	v_cndmask_b32_e64 v55, v50, v52, s[48:49]                  // 000000006660: D1000037 00C26932
	v_perm_b32 v200, v55, v54, s52                             // 000000006668: D1ED00C8 00D26D37
	v_cmp_u_f32_e64 s[48:49], v210, v210                       // 000000006670: D0480030 0003A5D2
	v_add3_u32 v50, v210, v53, 1                               // 000000006678: D1FF0032 02066BD2
	v_cndmask_b32_e64 v54, v50, v52, s[48:49]                  // 000000006680: D1000036 00C26932
	v_cmp_u_f32_e64 s[48:49], v211, v211                       // 000000006688: D0480030 0003A7D3
	v_add3_u32 v50, v211, v53, 1                               // 000000006690: D1FF0032 02066BD3
	v_cndmask_b32_e64 v55, v50, v52, s[48:49]                  // 000000006698: D1000037 00C26932
	v_perm_b32 v201, v55, v54, s52                             // 0000000066A0: D1ED00C9 00D26D37
	v_cmp_u_f32_e64 s[48:49], v212, v212                       // 0000000066A8: D0480030 0003A9D4
	v_add3_u32 v50, v212, v53, 1                               // 0000000066B0: D1FF0032 02066BD4
	v_cndmask_b32_e64 v54, v50, v52, s[48:49]                  // 0000000066B8: D1000036 00C26932
	v_cmp_u_f32_e64 s[48:49], v213, v213                       // 0000000066C0: D0480030 0003ABD5
	v_add3_u32 v50, v213, v53, 1                               // 0000000066C8: D1FF0032 02066BD5
	v_cndmask_b32_e64 v55, v50, v52, s[48:49]                  // 0000000066D0: D1000037 00C26932
	v_perm_b32 v202, v55, v54, s52                             // 0000000066D8: D1ED00CA 00D26D37
	v_cmp_u_f32_e64 s[48:49], v214, v214                       // 0000000066E0: D0480030 0003ADD6
	v_add3_u32 v50, v214, v53, 1                               // 0000000066E8: D1FF0032 02066BD6
	v_cndmask_b32_e64 v54, v50, v52, s[48:49]                  // 0000000066F0: D1000036 00C26932
	v_cmp_u_f32_e64 s[48:49], v215, v215                       // 0000000066F8: D0480030 0003AFD7
	v_add3_u32 v50, v215, v53, 1                               // 000000006700: D1FF0032 02066BD7
	v_cndmask_b32_e64 v55, v50, v52, s[48:49]                  // 000000006708: D1000037 00C26932
	v_perm_b32 v203, v55, v54, s52                             // 000000006710: D1ED00CB 00D26D37
	v_cmp_u_f32_e64 s[48:49], v216, v216                       // 000000006718: D0480030 0003B1D8
	v_add3_u32 v50, v216, v53, 1                               // 000000006720: D1FF0032 02066BD8
	v_cndmask_b32_e64 v54, v50, v52, s[48:49]                  // 000000006728: D1000036 00C26932
	v_cmp_u_f32_e64 s[48:49], v217, v217                       // 000000006730: D0480030 0003B3D9
	v_add3_u32 v50, v217, v53, 1                               // 000000006738: D1FF0032 02066BD9
	v_cndmask_b32_e64 v55, v50, v52, s[48:49]                  // 000000006740: D1000037 00C26932
	v_perm_b32 v204, v55, v54, s52                             // 000000006748: D1ED00CC 00D26D37
	v_cmp_u_f32_e64 s[48:49], v218, v218                       // 000000006750: D0480030 0003B5DA
	v_add3_u32 v50, v218, v53, 1                               // 000000006758: D1FF0032 02066BDA
	v_cndmask_b32_e64 v54, v50, v52, s[48:49]                  // 000000006760: D1000036 00C26932
	v_cmp_u_f32_e64 s[48:49], v219, v219                       // 000000006768: D0480030 0003B7DB
	v_add3_u32 v50, v219, v53, 1                               // 000000006770: D1FF0032 02066BDB
	v_cndmask_b32_e64 v55, v50, v52, s[48:49]                  // 000000006778: D1000037 00C26932
	v_perm_b32 v205, v55, v54, s52                             // 000000006780: D1ED00CD 00D26D37
	v_cmp_u_f32_e64 s[48:49], v220, v220                       // 000000006788: D0480030 0003B9DC
	v_add3_u32 v50, v220, v53, 1                               // 000000006790: D1FF0032 02066BDC
	v_cndmask_b32_e64 v54, v50, v52, s[48:49]                  // 000000006798: D1000036 00C26932
	v_cmp_u_f32_e64 s[48:49], v221, v221                       // 0000000067A0: D0480030 0003BBDD
	v_add3_u32 v50, v221, v53, 1                               // 0000000067A8: D1FF0032 02066BDD
	v_cndmask_b32_e64 v55, v50, v52, s[48:49]                  // 0000000067B0: D1000037 00C26932
	v_perm_b32 v206, v55, v54, s52                             // 0000000067B8: D1ED00CE 00D26D37
	v_cmp_u_f32_e64 s[48:49], v222, v222                       // 0000000067C0: D0480030 0003BDDE
	v_add3_u32 v50, v222, v53, 1                               // 0000000067C8: D1FF0032 02066BDE
	v_cndmask_b32_e64 v54, v50, v52, s[48:49]                  // 0000000067D0: D1000036 00C26932
	v_cmp_u_f32_e64 s[48:49], v223, v223                       // 0000000067D8: D0480030 0003BFDF
	v_add3_u32 v50, v223, v53, 1                               // 0000000067E0: D1FF0032 02066BDF
	v_cndmask_b32_e64 v55, v50, v52, s[48:49]                  // 0000000067E8: D1000037 00C26932
	v_perm_b32 v207, v55, v54, s52                             // 0000000067F0: D1ED00CF 00D26D37
	s_setvskip s20, 0                                          // 0000000067F8: BF108014
	global_atomic_pk_add_bf16 v80, v64, s[8:9]                 // 0000000067FC: DD488000 00084050
	s_setvskip 0, 0                                            // 000000006804: BF108080
	s_setvskip s20, 0                                          // 000000006808: BF108014
	global_atomic_pk_add_bf16 v80, v65, s[8:9] offset:256      // 00000000680C: DD488100 00084150
	s_setvskip 0, 0                                            // 000000006814: BF108080
	s_setvskip s20, 1                                          // 000000006818: BF108114
	global_atomic_pk_add_bf16 v82, v66, s[8:9]                 // 00000000681C: DD488000 00084252
	s_setvskip 0, 0                                            // 000000006824: BF108080
	s_setvskip s20, 1                                          // 000000006828: BF108114
	global_atomic_pk_add_bf16 v82, v67, s[8:9] offset:256      // 00000000682C: DD488100 00084352
	s_setvskip 0, 0                                            // 000000006834: BF108080
	s_setvskip s20, 2                                          // 000000006838: BF108214
	global_atomic_pk_add_bf16 v84, v68, s[8:9]                 // 00000000683C: DD488000 00084454
	s_setvskip 0, 0                                            // 000000006844: BF108080
	s_setvskip s20, 2                                          // 000000006848: BF108214
	global_atomic_pk_add_bf16 v84, v69, s[8:9] offset:256      // 00000000684C: DD488100 00084554
	s_setvskip 0, 0                                            // 000000006854: BF108080
	s_setvskip s20, 3                                          // 000000006858: BF108314
	global_atomic_pk_add_bf16 v86, v70, s[8:9]                 // 00000000685C: DD488000 00084656
	s_setvskip 0, 0                                            // 000000006864: BF108080
	s_setvskip s20, 3                                          // 000000006868: BF108314
	global_atomic_pk_add_bf16 v86, v71, s[8:9] offset:256      // 00000000686C: DD488100 00084756
	s_setvskip 0, 0                                            // 000000006874: BF108080
	s_setvskip s20, 4                                          // 000000006878: BF108414
	global_atomic_pk_add_bf16 v88, v72, s[8:9]                 // 00000000687C: DD488000 00084858
	s_setvskip 0, 0                                            // 000000006884: BF108080
	s_setvskip s20, 4                                          // 000000006888: BF108414
	global_atomic_pk_add_bf16 v88, v73, s[8:9] offset:256      // 00000000688C: DD488100 00084958
	s_setvskip 0, 0                                            // 000000006894: BF108080
	s_setvskip s20, 5                                          // 000000006898: BF108514
	global_atomic_pk_add_bf16 v90, v74, s[8:9]                 // 00000000689C: DD488000 00084A5A
	s_setvskip 0, 0                                            // 0000000068A4: BF108080
	s_setvskip s20, 5                                          // 0000000068A8: BF108514
	global_atomic_pk_add_bf16 v90, v75, s[8:9] offset:256      // 0000000068AC: DD488100 00084B5A
	s_setvskip 0, 0                                            // 0000000068B4: BF108080
	s_setvskip s20, 6                                          // 0000000068B8: BF108614
	global_atomic_pk_add_bf16 v92, v76, s[8:9]                 // 0000000068BC: DD488000 00084C5C
	s_setvskip 0, 0                                            // 0000000068C4: BF108080
	s_setvskip s20, 6                                          // 0000000068C8: BF108614
	global_atomic_pk_add_bf16 v92, v77, s[8:9] offset:256      // 0000000068CC: DD488100 00084D5C
	s_setvskip 0, 0                                            // 0000000068D4: BF108080
	s_setvskip s20, 7                                          // 0000000068D8: BF108714
	global_atomic_pk_add_bf16 v94, v78, s[8:9]                 // 0000000068DC: DD488000 00084E5E
	s_setvskip 0, 0                                            // 0000000068E4: BF108080
	s_setvskip s20, 7                                          // 0000000068E8: BF108714
	global_atomic_pk_add_bf16 v94, v79, s[8:9] offset:256      // 0000000068EC: DD488100 00084F5E
	s_setvskip 0, 0                                            // 0000000068F4: BF108080
	s_cmp_ge_u32 s80, 0x200                                    // 0000000068F8: BF09FF50 00000200
	s_cselect_b32 s59, 0x200, s59                              // 000000006900: 853B3BFF 00000200
	s_add_u32 s8, s59, s8                                      // 000000006908: 8008083B
	s_addc_u32 s9, 0, s9                                       // 00000000690C: 82090980
	s_addk_i32 s80, 0x100                                      // 000000006910: B7500100
	s_cmp_lt_i32 s80, s81                                      // 000000006914: BF045150
	s_cbranch_scc0 label_121C                                  // 000000006918: BF840355
	s_waitcnt vmcnt(25) lgkmcnt(0)                             // 00000000691C: BF8C4079
	s_barrier                                                  // 000000006920: BF8A0000
	v_mfma_i32_16x16x32_i8 v[224:227], a[128:129], v[128:129], 0// 000000006924: D3D700E0 0A030180
	ds_read_b32 v64, v4 offset:36096                           // 00000000692C: D86C8D00 40000004
	ds_read_b32 v65, v4 offset:40448                           // 000000006934: D86C9E00 41000004
	v_mfma_i32_16x16x32_i8 v[224:227], a[130:131], v[130:131], v[224:227]// 00000000693C: D3D700E0 0F830582
	buffer_load_dwordx4 a[0:3], v42, s[12:15], 0 offen         // 000000006944: E05C1000 8083002A
	v_mfma_i32_16x16x32_i8 v[224:227], a[132:133], v[132:133], v[224:227]// 00000000694C: D3D700E0 0F830984
	ds_read_b32 v66, v4 offset:36128                           // 000000006954: D86C8D20 42000004
	ds_read_b32 v67, v4 offset:40480                           // 00000000695C: D86C9E20 43000004
	v_mfma_i32_16x16x32_i8 v[224:227], a[134:135], v[134:135], v[224:227]// 000000006964: D3D700E0 0F830D86
	v_mfma_i32_16x16x32_i8 v[224:227], a[136:137], v[136:137], v[224:227]// 00000000696C: D3D700E0 0F831188
	ds_read_b32 v68, v4 offset:36160                           // 000000006974: D86C8D40 44000004
	ds_read_b32 v69, v4 offset:40512                           // 00000000697C: D86C9E40 45000004
	v_mfma_i32_16x16x32_i8 v[224:227], a[138:139], v[138:139], v[224:227]// 000000006984: D3D700E0 0F83158A
	buffer_load_dwordx4 a[4:7], v42, s[12:15], 0 offen offset:1024// 00000000698C: E05C1400 8083042A
	v_mfma_i32_16x16x32_i8 v[224:227], a[140:141], v[140:141], v[224:227]// 000000006994: D3D700E0 0F83198C
	ds_read_b32 v70, v4 offset:36192                           // 00000000699C: D86C8D60 46000004
	ds_read_b32 v71, v4 offset:40544                           // 0000000069A4: D86C9E60 47000004
	v_mfma_i32_16x16x32_i8 v[224:227], a[142:143], v[142:143], v[224:227]// 0000000069AC: D3D700E0 0F831D8E
	v_mfma_i32_16x16x32_i8 v[228:231], a[128:129], v[160:161], 0// 0000000069B4: D3D700E4 0A034180
	ds_read_b32 v72, v4 offset:44800                           // 0000000069BC: D86CAF00 48000004
	ds_read_b32 v73, v4 offset:49152                           // 0000000069C4: D86CC000 49000004
	v_mfma_i32_16x16x32_i8 v[228:231], a[130:131], v[162:163], v[228:231]// 0000000069CC: D3D700E4 0F934582
	buffer_load_dwordx4 a[8:11], v42, s[12:15], 0 offen offset:2048// 0000000069D4: E05C1800 8083082A
	v_mfma_i32_16x16x32_i8 v[228:231], a[132:133], v[164:165], v[228:231]// 0000000069DC: D3D700E4 0F934984
	ds_read_b32 v74, v4 offset:44832                           // 0000000069E4: D86CAF20 4A000004
	ds_read_b32 v75, v4 offset:49184                           // 0000000069EC: D86CC020 4B000004
	v_mfma_i32_16x16x32_i8 v[228:231], a[134:135], v[166:167], v[228:231]// 0000000069F4: D3D700E4 0F934D86
	v_mfma_i32_16x16x32_i8 v[228:231], a[136:137], v[168:169], v[228:231]// 0000000069FC: D3D700E4 0F935188
	ds_read_b32 v76, v4 offset:44864                           // 000000006A04: D86CAF40 4C000004
	ds_read_b32 v77, v4 offset:49216                           // 000000006A0C: D86CC040 4D000004
	v_mfma_i32_16x16x32_i8 v[228:231], a[138:139], v[170:171], v[228:231]// 000000006A14: D3D700E4 0F93558A
	buffer_load_dwordx4 a[12:15], v42, s[12:15], 0 offen offset:3072// 000000006A1C: E05C1C00 80830C2A
	v_mfma_i32_16x16x32_i8 v[228:231], a[140:141], v[172:173], v[228:231]// 000000006A24: D3D700E4 0F93598C
	ds_read_b32 v78, v4 offset:44896                           // 000000006A2C: D86CAF60 4E000004
	ds_read_b32 v79, v4 offset:49248                           // 000000006A34: D86CC060 4F000004
	v_mfma_i32_16x16x32_i8 v[228:231], a[142:143], v[174:175], v[228:231]// 000000006A3C: D3D700E4 0F935D8E
	v_mfma_i32_16x16x32_i8 v[232:235], a[144:145], v[128:129], 0// 000000006A44: D3D700E8 0A030190
	v_mfma_i32_16x16x32_i8 v[232:235], a[146:147], v[130:131], v[232:235]// 000000006A4C: D3D700E8 0FA30592
	buffer_load_dwordx4 a[16:19], v43, s[12:15], 0 offen       // 000000006A54: E05C1000 8083102B
	v_mfma_i32_16x16x32_i8 v[232:235], a[148:149], v[132:133], v[232:235]// 000000006A5C: D3D700E8 0FA30994
	v_mfma_i32_16x16x32_i8 v[232:235], a[150:151], v[134:135], v[232:235]// 000000006A64: D3D700E8 0FA30D96
	v_mfma_i32_16x16x32_i8 v[232:235], a[152:153], v[136:137], v[232:235]// 000000006A6C: D3D700E8 0FA31198
	v_mfma_i32_16x16x32_i8 v[232:235], a[154:155], v[138:139], v[232:235]// 000000006A74: D3D700E8 0FA3159A
	buffer_load_dwordx4 a[20:23], v43, s[12:15], 0 offen offset:1024// 000000006A7C: E05C1400 8083142B
	v_mfma_i32_16x16x32_i8 v[232:235], a[156:157], v[140:141], v[232:235]// 000000006A84: D3D700E8 0FA3199C
	v_mfma_i32_16x16x32_i8 v[232:235], a[158:159], v[142:143], v[232:235]// 000000006A8C: D3D700E8 0FA31D9E
	v_mfma_i32_16x16x32_i8 v[236:239], a[144:145], v[160:161], 0// 000000006A94: D3D700EC 0A034190
	v_mfma_i32_16x16x32_i8 v[236:239], a[146:147], v[162:163], v[236:239]// 000000006A9C: D3D700EC 0FB34592
	buffer_load_dwordx4 a[24:27], v43, s[12:15], 0 offen offset:2048// 000000006AA4: E05C1800 8083182B
	v_mfma_i32_16x16x32_i8 v[236:239], a[148:149], v[164:165], v[236:239]// 000000006AAC: D3D700EC 0FB34994
	v_mfma_i32_16x16x32_i8 v[236:239], a[150:151], v[166:167], v[236:239]// 000000006AB4: D3D700EC 0FB34D96
	v_mfma_i32_16x16x32_i8 v[236:239], a[152:153], v[168:169], v[236:239]// 000000006ABC: D3D700EC 0FB35198
	v_mfma_i32_16x16x32_i8 v[236:239], a[154:155], v[170:171], v[236:239]// 000000006AC4: D3D700EC 0FB3559A
	buffer_load_dwordx4 a[28:31], v43, s[12:15], 0 offen offset:3072// 000000006ACC: E05C1C00 80831C2B
	v_mfma_i32_16x16x32_i8 v[236:239], a[156:157], v[172:173], v[236:239]// 000000006AD4: D3D700EC 0FB3599C
	v_mfma_i32_16x16x32_i8 v[236:239], a[158:159], v[174:175], v[236:239]// 000000006ADC: D3D700EC 0FB35D9E
	s_waitcnt vmcnt(25)                                        // 000000006AE4: BF8C4F79
	v_mfma_i32_16x16x32_i8 v[240:243], a[160:161], v[128:129], 0// 000000006AE8: D3D700F0 0A0301A0
	v_mfma_i32_16x16x32_i8 v[240:243], a[162:163], v[130:131], v[240:243]// 000000006AF0: D3D700F0 0FC305A2
	buffer_load_dwordx4 a[32:35], v44, s[12:15], 0 offen       // 000000006AF8: E05C1000 8083202C
	v_mfma_i32_16x16x32_i8 v[240:243], a[164:165], v[132:133], v[240:243]// 000000006B00: D3D700F0 0FC309A4
	v_mfma_i32_16x16x32_i8 v[240:243], a[166:167], v[134:135], v[240:243]// 000000006B08: D3D700F0 0FC30DA6
	v_mfma_i32_16x16x32_i8 v[240:243], a[168:169], v[136:137], v[240:243]// 000000006B10: D3D700F0 0FC311A8
	v_mfma_i32_16x16x32_i8 v[240:243], a[170:171], v[138:139], v[240:243]// 000000006B18: D3D700F0 0FC315AA
	buffer_load_dwordx4 a[36:39], v44, s[12:15], 0 offen offset:1024// 000000006B20: E05C1400 8083242C
	v_mfma_i32_16x16x32_i8 v[240:243], a[172:173], v[140:141], v[240:243]// 000000006B28: D3D700F0 0FC319AC
	v_mfma_i32_16x16x32_i8 v[240:243], a[174:175], v[142:143], v[240:243]// 000000006B30: D3D700F0 0FC31DAE
	v_mfma_i32_16x16x32_i8 v[244:247], a[160:161], v[160:161], 0// 000000006B38: D3D700F4 0A0341A0
	v_mfma_i32_16x16x32_i8 v[244:247], a[162:163], v[162:163], v[244:247]// 000000006B40: D3D700F4 0FD345A2
	buffer_load_dwordx4 a[40:43], v44, s[12:15], 0 offen offset:2048// 000000006B48: E05C1800 8083282C
	v_mfma_i32_16x16x32_i8 v[244:247], a[164:165], v[164:165], v[244:247]// 000000006B50: D3D700F4 0FD349A4
	v_mfma_i32_16x16x32_i8 v[244:247], a[166:167], v[166:167], v[244:247]// 000000006B58: D3D700F4 0FD34DA6
	v_mfma_i32_16x16x32_i8 v[244:247], a[168:169], v[168:169], v[244:247]// 000000006B60: D3D700F4 0FD351A8
	v_mfma_i32_16x16x32_i8 v[244:247], a[170:171], v[170:171], v[244:247]// 000000006B68: D3D700F4 0FD355AA
	buffer_load_dwordx4 a[44:47], v44, s[12:15], 0 offen offset:3072// 000000006B70: E05C1C00 80832C2C
	v_mfma_i32_16x16x32_i8 v[244:247], a[172:173], v[172:173], v[244:247]// 000000006B78: D3D700F4 0FD359AC
	v_mfma_i32_16x16x32_i8 v[244:247], a[174:175], v[174:175], v[244:247]// 000000006B80: D3D700F4 0FD35DAE
	v_mfma_i32_16x16x32_i8 v[248:251], a[176:177], v[128:129], 0// 000000006B88: D3D700F8 0A0301B0
	v_mfma_i32_16x16x32_i8 v[248:251], a[178:179], v[130:131], v[248:251]// 000000006B90: D3D700F8 0FE305B2
	buffer_load_dwordx4 a[48:51], v45, s[12:15], 0 offen       // 000000006B98: E05C1000 8083302D
	v_mfma_i32_16x16x32_i8 v[248:251], a[180:181], v[132:133], v[248:251]// 000000006BA0: D3D700F8 0FE309B4
	v_mfma_i32_16x16x32_i8 v[248:251], a[182:183], v[134:135], v[248:251]// 000000006BA8: D3D700F8 0FE30DB6
	v_mfma_i32_16x16x32_i8 v[248:251], a[184:185], v[136:137], v[248:251]// 000000006BB0: D3D700F8 0FE311B8
	v_mfma_i32_16x16x32_i8 v[248:251], a[186:187], v[138:139], v[248:251]// 000000006BB8: D3D700F8 0FE315BA
	buffer_load_dwordx4 a[52:55], v45, s[12:15], 0 offen offset:1024// 000000006BC0: E05C1400 8083342D
	v_mfma_i32_16x16x32_i8 v[248:251], a[188:189], v[140:141], v[248:251]// 000000006BC8: D3D700F8 0FE319BC
	v_mfma_i32_16x16x32_i8 v[248:251], a[190:191], v[142:143], v[248:251]// 000000006BD0: D3D700F8 0FE31DBE
	v_mfma_i32_16x16x32_i8 v[252:255], a[176:177], v[160:161], 0// 000000006BD8: D3D700FC 0A0341B0
	v_mfma_i32_16x16x32_i8 v[252:255], a[178:179], v[162:163], v[252:255]// 000000006BE0: D3D700FC 0FF345B2
	buffer_load_dwordx4 a[56:59], v45, s[12:15], 0 offen offset:2048// 000000006BE8: E05C1800 8083382D
	v_mfma_i32_16x16x32_i8 v[252:255], a[180:181], v[164:165], v[252:255]// 000000006BF0: D3D700FC 0FF349B4
	v_mfma_i32_16x16x32_i8 v[252:255], a[182:183], v[166:167], v[252:255]// 000000006BF8: D3D700FC 0FF34DB6
	v_mfma_i32_16x16x32_i8 v[252:255], a[184:185], v[168:169], v[252:255]// 000000006C00: D3D700FC 0FF351B8
	v_mfma_i32_16x16x32_i8 v[252:255], a[186:187], v[170:171], v[252:255]// 000000006C08: D3D700FC 0FF355BA
	buffer_load_dwordx4 a[60:63], v45, s[12:15], 0 offen offset:3072// 000000006C10: E05C1C00 80833C2D
	s_add_u32 s12, s78, s12                                    // 000000006C18: 800C0C4E
	s_addc_u32 s13, 0, s13                                     // 000000006C1C: 820D0D80
	v_mfma_i32_16x16x32_i8 v[252:255], a[188:189], v[172:173], v[252:255]// 000000006C20: D3D700FC 0FF359BC
	v_mfma_i32_16x16x32_i8 v[252:255], a[190:191], v[174:175], v[252:255]// 000000006C28: D3D700FC 0FF35DBE
	s_waitcnt vmcnt(25)                                        // 000000006C30: BF8C4F79
	v_mfma_i32_16x16x32_i8 v[224:227], a[192:193], v[144:145], v[224:227]// 000000006C34: D3D700E0 0F8321C0
	ds_write_b64 v3, v[192:193] offset:18688                   // 000000006C3C: D89A4900 0000C003
	v_mfma_i32_16x16x32_i8 v[224:227], a[194:195], v[146:147], v[224:227]// 000000006C44: D3D700E0 0F8325C2
	buffer_load_dwordx4 a[64:67], v42, s[12:15], 0 offen       // 000000006C4C: E05C1000 8083402A
	v_mfma_i32_16x16x32_i8 v[224:227], a[196:197], v[148:149], v[224:227]// 000000006C54: D3D700E0 0F8329C4
	ds_write_b64 v3, v[194:195] offset:27392                   // 000000006C5C: D89A6B00 0000C203
	v_mfma_i32_16x16x32_i8 v[224:227], a[198:199], v[150:151], v[224:227]// 000000006C64: D3D700E0 0F832DC6
	v_mfma_i32_16x16x32_i8 v[224:227], a[200:201], v[152:153], v[224:227]// 000000006C6C: D3D700E0 0F8331C8
	ds_write_b64 v3, v[196:197] offset:20864                   // 000000006C74: D89A5180 0000C403
	v_mfma_i32_16x16x32_i8 v[224:227], a[202:203], v[154:155], v[224:227]// 000000006C7C: D3D700E0 0F8335CA
	buffer_load_dwordx4 a[68:71], v42, s[12:15], 0 offen offset:1024// 000000006C84: E05C1400 8083442A
	v_mfma_i32_16x16x32_i8 v[224:227], a[204:205], v[156:157], v[224:227]// 000000006C8C: D3D700E0 0F8339CC
	ds_write_b64 v3, v[198:199] offset:29568                   // 000000006C94: D89A7380 0000C603
	v_mfma_i32_16x16x32_i8 v[224:227], a[206:207], v[158:159], v[224:227]// 000000006C9C: D3D700E0 0F833DCE
	v_mfma_i32_16x16x32_i8 v[228:231], a[192:193], v[176:177], v[228:231]// 000000006CA4: D3D700E4 0F9361C0
	ds_write_b64 v3, v[200:201] offset:23040                   // 000000006CAC: D89A5A00 0000C803
	v_mfma_i32_16x16x32_i8 v[228:231], a[194:195], v[178:179], v[228:231]// 000000006CB4: D3D700E4 0F9365C2
	buffer_load_dwordx4 a[72:75], v42, s[12:15], 0 offen offset:2048// 000000006CBC: E05C1800 8083482A
	v_mfma_i32_16x16x32_i8 v[228:231], a[196:197], v[180:181], v[228:231]// 000000006CC4: D3D700E4 0F9369C4
	ds_write_b64 v3, v[202:203] offset:31744                   // 000000006CCC: D89A7C00 0000CA03
	v_mfma_i32_16x16x32_i8 v[228:231], a[198:199], v[182:183], v[228:231]// 000000006CD4: D3D700E4 0F936DC6
	v_mfma_i32_16x16x32_i8 v[228:231], a[200:201], v[184:185], v[228:231]// 000000006CDC: D3D700E4 0F9371C8
	ds_write_b64 v3, v[204:205] offset:25216                   // 000000006CE4: D89A6280 0000CC03
	v_mfma_i32_16x16x32_i8 v[228:231], a[202:203], v[186:187], v[228:231]// 000000006CEC: D3D700E4 0F9375CA
	buffer_load_dwordx4 a[76:79], v42, s[12:15], 0 offen offset:3072// 000000006CF4: E05C1C00 80834C2A
	v_mfma_i32_16x16x32_i8 v[228:231], a[204:205], v[188:189], v[228:231]// 000000006CFC: D3D700E4 0F9379CC
	ds_write_b64 v3, v[206:207] offset:33920                   // 000000006D04: D89A8480 0000CE03
	v_mfma_i32_16x16x32_i8 v[228:231], a[206:207], v[190:191], v[228:231]// 000000006D0C: D3D700E4 0F937DCE
	v_mfma_i32_16x16x32_i8 v[232:235], a[208:209], v[144:145], v[232:235]// 000000006D14: D3D700E8 0FA321D0
	v_mfma_i32_16x16x32_i8 v[232:235], a[210:211], v[146:147], v[232:235]// 000000006D1C: D3D700E8 0FA325D2
	buffer_load_dwordx4 a[80:83], v43, s[12:15], 0 offen       // 000000006D24: E05C1000 8083502B
	v_mfma_i32_16x16x32_i8 v[232:235], a[212:213], v[148:149], v[232:235]// 000000006D2C: D3D700E8 0FA329D4
	v_mfma_i32_16x16x32_i8 v[232:235], a[214:215], v[150:151], v[232:235]// 000000006D34: D3D700E8 0FA32DD6
	v_mfma_i32_16x16x32_i8 v[232:235], a[216:217], v[152:153], v[232:235]// 000000006D3C: D3D700E8 0FA331D8
	v_mfma_i32_16x16x32_i8 v[232:235], a[218:219], v[154:155], v[232:235]// 000000006D44: D3D700E8 0FA335DA
	buffer_load_dwordx4 a[84:87], v43, s[12:15], 0 offen offset:1024// 000000006D4C: E05C1400 8083542B
	v_mfma_i32_16x16x32_i8 v[232:235], a[220:221], v[156:157], v[232:235]// 000000006D54: D3D700E8 0FA339DC
	v_mfma_i32_16x16x32_i8 v[232:235], a[222:223], v[158:159], v[232:235]// 000000006D5C: D3D700E8 0FA33DDE
	v_mfma_i32_16x16x32_i8 v[236:239], a[208:209], v[176:177], v[236:239]// 000000006D64: D3D700EC 0FB361D0
	v_mfma_i32_16x16x32_i8 v[236:239], a[210:211], v[178:179], v[236:239]// 000000006D6C: D3D700EC 0FB365D2
	buffer_load_dwordx4 a[88:91], v43, s[12:15], 0 offen offset:2048// 000000006D74: E05C1800 8083582B
	v_mfma_i32_16x16x32_i8 v[236:239], a[212:213], v[180:181], v[236:239]// 000000006D7C: D3D700EC 0FB369D4
	v_mfma_i32_16x16x32_i8 v[236:239], a[214:215], v[182:183], v[236:239]// 000000006D84: D3D700EC 0FB36DD6
	v_mfma_i32_16x16x32_i8 v[236:239], a[216:217], v[184:185], v[236:239]// 000000006D8C: D3D700EC 0FB371D8
	v_mfma_i32_16x16x32_i8 v[236:239], a[218:219], v[186:187], v[236:239]// 000000006D94: D3D700EC 0FB375DA
	buffer_load_dwordx4 a[92:95], v43, s[12:15], 0 offen offset:3072// 000000006D9C: E05C1C00 80835C2B
	v_mfma_i32_16x16x32_i8 v[236:239], a[220:221], v[188:189], v[236:239]// 000000006DA4: D3D700EC 0FB379DC
	v_mfma_i32_16x16x32_i8 v[236:239], a[222:223], v[190:191], v[236:239]// 000000006DAC: D3D700EC 0FB37DDE
	s_waitcnt vmcnt(24)                                        // 000000006DB4: BF8C4F78
	v_mfma_i32_16x16x32_i8 v[240:243], a[224:225], v[144:145], v[240:243]// 000000006DB8: D3D700F0 0FC321E0
	v_mfma_i32_16x16x32_i8 v[240:243], a[226:227], v[146:147], v[240:243]// 000000006DC0: D3D700F0 0FC325E2
	buffer_load_dwordx4 a[96:99], v44, s[12:15], 0 offen       // 000000006DC8: E05C1000 8083602C
	v_mfma_i32_16x16x32_i8 v[240:243], a[228:229], v[148:149], v[240:243]// 000000006DD0: D3D700F0 0FC329E4
	v_mfma_i32_16x16x32_i8 v[240:243], a[230:231], v[150:151], v[240:243]// 000000006DD8: D3D700F0 0FC32DE6
	buffer_load_dword v12, v5, s[16:19], 0 offen               // 000000006DE0: E0501000 80040C05
	v_mfma_i32_16x16x32_i8 v[240:243], a[232:233], v[152:153], v[240:243]// 000000006DE8: D3D700F0 0FC331E8
	v_mfma_i32_16x16x32_i8 v[240:243], a[234:235], v[154:155], v[240:243]// 000000006DF0: D3D700F0 0FC335EA
	buffer_load_dwordx4 a[100:103], v44, s[12:15], 0 offen offset:1024// 000000006DF8: E05C1400 8083642C
	v_mfma_i32_16x16x32_i8 v[240:243], a[236:237], v[156:157], v[240:243]// 000000006E00: D3D700F0 0FC339EC
	v_mfma_i32_16x16x32_i8 v[240:243], a[238:239], v[158:159], v[240:243]// 000000006E08: D3D700F0 0FC33DEE
	v_mfma_i32_16x16x32_i8 v[244:247], a[224:225], v[176:177], v[244:247]// 000000006E10: D3D700F4 0FD361E0
	v_mfma_i32_16x16x32_i8 v[244:247], a[226:227], v[178:179], v[244:247]// 000000006E18: D3D700F4 0FD365E2
	buffer_load_dwordx4 a[104:107], v44, s[12:15], 0 offen offset:2048// 000000006E20: E05C1800 8083682C
	v_mfma_i32_16x16x32_i8 v[244:247], a[228:229], v[180:181], v[244:247]// 000000006E28: D3D700F4 0FD369E4
	s_add_u32 s60, 0x200, s80                                  // 000000006E30: 803C50FF 00000200
	s_cmp_lt_u32 s60, s81                                      // 000000006E38: BF0A513C
	v_mfma_i32_16x16x32_i8 v[244:247], a[230:231], v[182:183], v[244:247]// 000000006E3C: D3D700F4 0FD36DE6
	s_cselect_b32 s56, s56, 0                                  // 000000006E44: 85388038
	s_cselect_b32 s78, s78, 0                                  // 000000006E48: 854E804E
	s_cselect_b32 s79, s79, 0                                  // 000000006E4C: 854F804F
	v_mfma_i32_16x16x32_i8 v[244:247], a[232:233], v[184:185], v[244:247]// 000000006E50: D3D700F4 0FD371E8
	v_mfma_i32_16x16x32_i8 v[244:247], a[234:235], v[186:187], v[244:247]// 000000006E58: D3D700F4 0FD375EA
	buffer_load_dwordx4 a[108:111], v44, s[12:15], 0 offen offset:3072// 000000006E60: E05C1C00 80836C2C
	v_mfma_i32_16x16x32_i8 v[244:247], a[236:237], v[188:189], v[244:247]// 000000006E68: D3D700F4 0FD379EC
	s_add_u32 s16, s79, s16                                    // 000000006E70: 8010104F
	s_addc_u32 s17, 0, s17                                     // 000000006E74: 82111180
	v_mfma_i32_16x16x32_i8 v[244:247], a[238:239], v[190:191], v[244:247]// 000000006E78: D3D700F4 0FD37DEE
	v_mfma_i32_16x16x32_i8 v[248:251], a[240:241], v[144:145], v[248:251]// 000000006E80: D3D700F8 0FE321F0
	v_mfma_i32_16x16x32_i8 v[248:251], a[242:243], v[146:147], v[248:251]// 000000006E88: D3D700F8 0FE325F2
	buffer_load_dwordx4 a[112:115], v45, s[12:15], 0 offen     // 000000006E90: E05C1000 8083702D
	v_mfma_i32_16x16x32_i8 v[248:251], a[244:245], v[148:149], v[248:251]// 000000006E98: D3D700F8 0FE329F4
	v_mfma_i32_16x16x32_i8 v[248:251], a[246:247], v[150:151], v[248:251]// 000000006EA0: D3D700F8 0FE32DF6
	v_mfma_i32_16x16x32_i8 v[248:251], a[248:249], v[152:153], v[248:251]// 000000006EA8: D3D700F8 0FE331F8
	v_mfma_i32_16x16x32_i8 v[248:251], a[250:251], v[154:155], v[248:251]// 000000006EB0: D3D700F8 0FE335FA
	buffer_load_dwordx4 a[116:119], v45, s[12:15], 0 offen offset:1024// 000000006EB8: E05C1400 8083742D
	v_mfma_i32_16x16x32_i8 v[248:251], a[252:253], v[156:157], v[248:251]// 000000006EC0: D3D700F8 0FE339FC
	v_mfma_i32_16x16x32_i8 v[248:251], a[254:255], v[158:159], v[248:251]// 000000006EC8: D3D700F8 0FE33DFE
	v_mfma_i32_16x16x32_i8 v[252:255], a[240:241], v[176:177], v[252:255]// 000000006ED0: D3D700FC 0FF361F0
	v_mfma_i32_16x16x32_i8 v[252:255], a[242:243], v[178:179], v[252:255]// 000000006ED8: D3D700FC 0FF365F2
	buffer_load_dwordx4 a[120:123], v45, s[12:15], 0 offen offset:2048// 000000006EE0: E05C1800 8083782D
	v_mfma_i32_16x16x32_i8 v[252:255], a[244:245], v[180:181], v[252:255]// 000000006EE8: D3D700FC 0FF369F4
	v_mfma_i32_16x16x32_i8 v[252:255], a[246:247], v[182:183], v[252:255]// 000000006EF0: D3D700FC 0FF36DF6
	v_mfma_i32_16x16x32_i8 v[252:255], a[248:249], v[184:185], v[252:255]// 000000006EF8: D3D700FC 0FF371F8
	v_mfma_i32_16x16x32_i8 v[252:255], a[250:251], v[186:187], v[252:255]// 000000006F00: D3D700FC 0FF375FA
	buffer_load_dwordx4 a[124:127], v45, s[12:15], 0 offen offset:3072// 000000006F08: E05C1C00 80837C2D
	v_mfma_i32_16x16x32_i8 v[252:255], a[252:253], v[188:189], v[252:255]// 000000006F10: D3D700FC 0FF379FC
	s_add_u32 s12, s56, s12                                    // 000000006F18: 800C0C38
	s_addc_u32 s13, 0, s13                                     // 000000006F1C: 820D0D80
	v_mfma_i32_16x16x32_i8 v[252:255], a[254:255], v[190:191], v[252:255]// 000000006F20: D3D700FC 0FF37DFE
	v_mov_b32_e32 v96, v24                                     // 000000006F28: 7EC00318
	v_mov_b32_e32 v100, v20                                    // 000000006F2C: 7EC80314
	v_mov_b32_e32 v97, v24                                     // 000000006F30: 7EC20318
	v_mov_b32_e32 v101, v20                                    // 000000006F34: 7ECA0314
	v_mov_b32_e32 v98, v25                                     // 000000006F38: 7EC40319
	v_mov_b32_e32 v102, v21                                    // 000000006F3C: 7ECC0315
	v_mov_b32_e32 v99, v25                                     // 000000006F40: 7EC60319
	v_mov_b32_e32 v103, v21                                    // 000000006F44: 7ECE0315
	v_cvt_f32_i32_e32 v224, v224                               // 000000006F48: 7FC00BE0
	v_cvt_f32_i32_e32 v225, v225                               // 000000006F4C: 7FC20BE1
	v_cvt_f32_i32_e32 v226, v226                               // 000000006F50: 7FC40BE2
	v_cvt_f32_i32_e32 v227, v227                               // 000000006F54: 7FC60BE3
	v_pk_mul_f32 v[224:225], v[96:97], v[224:225]              // 000000006F58: D3B140E0 1803C160
	v_pk_mul_f32 v[226:227], v[96:97], v[226:227]              // 000000006F60: D3B140E2 1803C560
	v_mul_f32_dpp v224, v13, v224 row_newbcast:0 row_mask:0xf bank_mask:0xf// 000000006F68: 0BC1C0FA FF01500D
	v_mul_f32_dpp v225, v13, v225 row_newbcast:1 row_mask:0xf bank_mask:0xf// 000000006F70: 0BC3C2FA FF01510D
	v_mul_f32_dpp v226, v13, v226 row_newbcast:2 row_mask:0xf bank_mask:0xf// 000000006F78: 0BC5C4FA FF01520D
	v_mul_f32_dpp v227, v13, v227 row_newbcast:3 row_mask:0xf bank_mask:0xf// 000000006F80: 0BC7C6FA FF01530D
	v_pk_mul_f32 v[224:225], v[100:101], v[224:225]            // 000000006F88: D3B140E0 1803C164
	v_pk_mul_f32 v[226:227], v[100:101], v[226:227]            // 000000006F90: D3B140E2 1803C564
	v_cvt_f32_i32_e32 v228, v228                               // 000000006F98: 7FC80BE4
	v_cvt_f32_i32_e32 v229, v229                               // 000000006F9C: 7FCA0BE5
	v_cvt_f32_i32_e32 v230, v230                               // 000000006FA0: 7FCC0BE6
	v_cvt_f32_i32_e32 v231, v231                               // 000000006FA4: 7FCE0BE7
	v_pk_mul_f32 v[228:229], v[98:99], v[228:229]              // 000000006FA8: D3B140E4 1803C962
	v_pk_mul_f32 v[230:231], v[98:99], v[230:231]              // 000000006FB0: D3B140E6 1803CD62
	v_mul_f32_dpp v228, v13, v228 row_newbcast:0 row_mask:0xf bank_mask:0xf// 000000006FB8: 0BC9C8FA FF01500D
	v_mul_f32_dpp v229, v13, v229 row_newbcast:1 row_mask:0xf bank_mask:0xf// 000000006FC0: 0BCBCAFA FF01510D
	v_mul_f32_dpp v230, v13, v230 row_newbcast:2 row_mask:0xf bank_mask:0xf// 000000006FC8: 0BCDCCFA FF01520D
	v_mul_f32_dpp v231, v13, v231 row_newbcast:3 row_mask:0xf bank_mask:0xf// 000000006FD0: 0BCFCEFA FF01530D
	v_pk_mul_f32 v[228:229], v[102:103], v[228:229]            // 000000006FD8: D3B140E4 1803C966
	v_pk_mul_f32 v[230:231], v[102:103], v[230:231]            // 000000006FE0: D3B140E6 1803CD66
	v_cvt_f32_i32_e32 v232, v232                               // 000000006FE8: 7FD00BE8
	v_cvt_f32_i32_e32 v233, v233                               // 000000006FEC: 7FD20BE9
	v_cvt_f32_i32_e32 v234, v234                               // 000000006FF0: 7FD40BEA
	v_cvt_f32_i32_e32 v235, v235                               // 000000006FF4: 7FD60BEB
	v_pk_mul_f32 v[232:233], v[96:97], v[232:233]              // 000000006FF8: D3B140E8 1803D160
	v_pk_mul_f32 v[234:235], v[96:97], v[234:235]              // 000000007000: D3B140EA 1803D560
	v_mul_f32_dpp v232, v13, v232 row_newbcast:4 row_mask:0xf bank_mask:0xf// 000000007008: 0BD1D0FA FF01540D
	v_mul_f32_dpp v233, v13, v233 row_newbcast:5 row_mask:0xf bank_mask:0xf// 000000007010: 0BD3D2FA FF01550D
	v_mul_f32_dpp v234, v13, v234 row_newbcast:6 row_mask:0xf bank_mask:0xf// 000000007018: 0BD5D4FA FF01560D
	v_mul_f32_dpp v235, v13, v235 row_newbcast:7 row_mask:0xf bank_mask:0xf// 000000007020: 0BD7D6FA FF01570D
	v_pk_mul_f32 v[232:233], v[100:101], v[232:233]            // 000000007028: D3B140E8 1803D164
	v_pk_mul_f32 v[234:235], v[100:101], v[234:235]            // 000000007030: D3B140EA 1803D564
	v_cvt_f32_i32_e32 v236, v236                               // 000000007038: 7FD80BEC
	v_cvt_f32_i32_e32 v237, v237                               // 00000000703C: 7FDA0BED
	v_cvt_f32_i32_e32 v238, v238                               // 000000007040: 7FDC0BEE
	v_cvt_f32_i32_e32 v239, v239                               // 000000007044: 7FDE0BEF
	v_pk_mul_f32 v[236:237], v[98:99], v[236:237]              // 000000007048: D3B140EC 1803D962
	v_pk_mul_f32 v[238:239], v[98:99], v[238:239]              // 000000007050: D3B140EE 1803DD62
	v_mul_f32_dpp v236, v13, v236 row_newbcast:4 row_mask:0xf bank_mask:0xf// 000000007058: 0BD9D8FA FF01540D
	v_mul_f32_dpp v237, v13, v237 row_newbcast:5 row_mask:0xf bank_mask:0xf// 000000007060: 0BDBDAFA FF01550D
	v_mul_f32_dpp v238, v13, v238 row_newbcast:6 row_mask:0xf bank_mask:0xf// 000000007068: 0BDDDCFA FF01560D
	v_mul_f32_dpp v239, v13, v239 row_newbcast:7 row_mask:0xf bank_mask:0xf// 000000007070: 0BDFDEFA FF01570D
	v_pk_mul_f32 v[236:237], v[102:103], v[236:237]            // 000000007078: D3B140EC 1803D966
	v_pk_mul_f32 v[238:239], v[102:103], v[238:239]            // 000000007080: D3B140EE 1803DD66
	v_cvt_f32_i32_e32 v240, v240                               // 000000007088: 7FE00BF0
	v_cvt_f32_i32_e32 v241, v241                               // 00000000708C: 7FE20BF1
	v_cvt_f32_i32_e32 v242, v242                               // 000000007090: 7FE40BF2
	v_cvt_f32_i32_e32 v243, v243                               // 000000007094: 7FE60BF3
	v_pk_mul_f32 v[240:241], v[96:97], v[240:241]              // 000000007098: D3B140F0 1803E160
	v_pk_mul_f32 v[242:243], v[96:97], v[242:243]              // 0000000070A0: D3B140F2 1803E560
	v_mul_f32_dpp v240, v13, v240 row_newbcast:8 row_mask:0xf bank_mask:0xf// 0000000070A8: 0BE1E0FA FF01580D
	v_mul_f32_dpp v241, v13, v241 row_newbcast:9 row_mask:0xf bank_mask:0xf// 0000000070B0: 0BE3E2FA FF01590D
	v_mul_f32_dpp v242, v13, v242 row_newbcast:10 row_mask:0xf bank_mask:0xf// 0000000070B8: 0BE5E4FA FF015A0D
	v_mul_f32_dpp v243, v13, v243 row_newbcast:11 row_mask:0xf bank_mask:0xf// 0000000070C0: 0BE7E6FA FF015B0D
	v_pk_mul_f32 v[240:241], v[100:101], v[240:241]            // 0000000070C8: D3B140F0 1803E164
	v_pk_mul_f32 v[242:243], v[100:101], v[242:243]            // 0000000070D0: D3B140F2 1803E564
	v_cvt_f32_i32_e32 v244, v244                               // 0000000070D8: 7FE80BF4
	v_cvt_f32_i32_e32 v245, v245                               // 0000000070DC: 7FEA0BF5
	v_cvt_f32_i32_e32 v246, v246                               // 0000000070E0: 7FEC0BF6
	v_cvt_f32_i32_e32 v247, v247                               // 0000000070E4: 7FEE0BF7
	v_pk_mul_f32 v[244:245], v[98:99], v[244:245]              // 0000000070E8: D3B140F4 1803E962
	v_pk_mul_f32 v[246:247], v[98:99], v[246:247]              // 0000000070F0: D3B140F6 1803ED62
	v_mul_f32_dpp v244, v13, v244 row_newbcast:8 row_mask:0xf bank_mask:0xf// 0000000070F8: 0BE9E8FA FF01580D
	v_mul_f32_dpp v245, v13, v245 row_newbcast:9 row_mask:0xf bank_mask:0xf// 000000007100: 0BEBEAFA FF01590D
	v_mul_f32_dpp v246, v13, v246 row_newbcast:10 row_mask:0xf bank_mask:0xf// 000000007108: 0BEDECFA FF015A0D
	v_mul_f32_dpp v247, v13, v247 row_newbcast:11 row_mask:0xf bank_mask:0xf// 000000007110: 0BEFEEFA FF015B0D
	v_pk_mul_f32 v[244:245], v[102:103], v[244:245]            // 000000007118: D3B140F4 1803E966
	v_pk_mul_f32 v[246:247], v[102:103], v[246:247]            // 000000007120: D3B140F6 1803ED66
	v_cvt_f32_i32_e32 v248, v248                               // 000000007128: 7FF00BF8
	v_cvt_f32_i32_e32 v249, v249                               // 00000000712C: 7FF20BF9
	v_cvt_f32_i32_e32 v250, v250                               // 000000007130: 7FF40BFA
	v_cvt_f32_i32_e32 v251, v251                               // 000000007134: 7FF60BFB
	v_pk_mul_f32 v[248:249], v[96:97], v[248:249]              // 000000007138: D3B140F8 1803F160
	v_pk_mul_f32 v[250:251], v[96:97], v[250:251]              // 000000007140: D3B140FA 1803F560
	v_mul_f32_dpp v248, v13, v248 row_newbcast:12 row_mask:0xf bank_mask:0xf// 000000007148: 0BF1F0FA FF015C0D
	v_mul_f32_dpp v249, v13, v249 row_newbcast:13 row_mask:0xf bank_mask:0xf// 000000007150: 0BF3F2FA FF015D0D
	v_mul_f32_dpp v250, v13, v250 row_newbcast:14 row_mask:0xf bank_mask:0xf// 000000007158: 0BF5F4FA FF015E0D
	v_mul_f32_dpp v251, v13, v251 row_newbcast:15 row_mask:0xf bank_mask:0xf// 000000007160: 0BF7F6FA FF015F0D
	v_pk_mul_f32 v[248:249], v[100:101], v[248:249]            // 000000007168: D3B140F8 1803F164
	v_pk_mul_f32 v[250:251], v[100:101], v[250:251]            // 000000007170: D3B140FA 1803F564
	v_cvt_f32_i32_e32 v252, v252                               // 000000007178: 7FF80BFC
	v_cvt_f32_i32_e32 v253, v253                               // 00000000717C: 7FFA0BFD
	v_cvt_f32_i32_e32 v254, v254                               // 000000007180: 7FFC0BFE
	v_cvt_f32_i32_e32 v255, v255                               // 000000007184: 7FFE0BFF
	v_pk_mul_f32 v[252:253], v[98:99], v[252:253]              // 000000007188: D3B140FC 1803F962
	v_pk_mul_f32 v[254:255], v[98:99], v[254:255]              // 000000007190: D3B140FE 1803FD62
	v_mul_f32_dpp v252, v13, v252 row_newbcast:12 row_mask:0xf bank_mask:0xf// 000000007198: 0BF9F8FA FF015C0D
	v_mul_f32_dpp v253, v13, v253 row_newbcast:13 row_mask:0xf bank_mask:0xf// 0000000071A0: 0BFBFAFA FF015D0D
	v_mul_f32_dpp v254, v13, v254 row_newbcast:14 row_mask:0xf bank_mask:0xf// 0000000071A8: 0BFDFCFA FF015E0D
	v_mul_f32_dpp v255, v13, v255 row_newbcast:15 row_mask:0xf bank_mask:0xf// 0000000071B0: 0BFFFEFA FF015F0D
	v_pk_mul_f32 v[252:253], v[102:103], v[252:253]            // 0000000071B8: D3B140FC 1803F966
	v_pk_mul_f32 v[254:255], v[102:103], v[254:255]            // 0000000071C0: D3B140FE 1803FD66
	v_cmp_u_f32_e64 s[48:49], v224, v224                       // 0000000071C8: D0480030 0003C1E0
	v_add3_u32 v50, v224, v53, 1                               // 0000000071D0: D1FF0032 02066BE0
	v_cndmask_b32_e64 v54, v50, v52, s[48:49]                  // 0000000071D8: D1000036 00C26932
	v_cmp_u_f32_e64 s[48:49], v225, v225                       // 0000000071E0: D0480030 0003C3E1
	v_add3_u32 v50, v225, v53, 1                               // 0000000071E8: D1FF0032 02066BE1
	v_cndmask_b32_e64 v55, v50, v52, s[48:49]                  // 0000000071F0: D1000037 00C26932
	v_perm_b32 v224, v55, v54, s52                             // 0000000071F8: D1ED00E0 00D26D37
	v_cmp_u_f32_e64 s[48:49], v226, v226                       // 000000007200: D0480030 0003C5E2
	v_add3_u32 v50, v226, v53, 1                               // 000000007208: D1FF0032 02066BE2
	v_cndmask_b32_e64 v54, v50, v52, s[48:49]                  // 000000007210: D1000036 00C26932
	v_cmp_u_f32_e64 s[48:49], v227, v227                       // 000000007218: D0480030 0003C7E3
	v_add3_u32 v50, v227, v53, 1                               // 000000007220: D1FF0032 02066BE3
	v_cndmask_b32_e64 v55, v50, v52, s[48:49]                  // 000000007228: D1000037 00C26932
	v_perm_b32 v225, v55, v54, s52                             // 000000007230: D1ED00E1 00D26D37
	v_cmp_u_f32_e64 s[48:49], v228, v228                       // 000000007238: D0480030 0003C9E4
	v_add3_u32 v50, v228, v53, 1                               // 000000007240: D1FF0032 02066BE4
	v_cndmask_b32_e64 v54, v50, v52, s[48:49]                  // 000000007248: D1000036 00C26932
	v_cmp_u_f32_e64 s[48:49], v229, v229                       // 000000007250: D0480030 0003CBE5
	v_add3_u32 v50, v229, v53, 1                               // 000000007258: D1FF0032 02066BE5
	v_cndmask_b32_e64 v55, v50, v52, s[48:49]                  // 000000007260: D1000037 00C26932
	v_perm_b32 v226, v55, v54, s52                             // 000000007268: D1ED00E2 00D26D37
	v_cmp_u_f32_e64 s[48:49], v230, v230                       // 000000007270: D0480030 0003CDE6
	v_add3_u32 v50, v230, v53, 1                               // 000000007278: D1FF0032 02066BE6
	v_cndmask_b32_e64 v54, v50, v52, s[48:49]                  // 000000007280: D1000036 00C26932
	v_cmp_u_f32_e64 s[48:49], v231, v231                       // 000000007288: D0480030 0003CFE7
	v_add3_u32 v50, v231, v53, 1                               // 000000007290: D1FF0032 02066BE7
	v_cndmask_b32_e64 v55, v50, v52, s[48:49]                  // 000000007298: D1000037 00C26932
	v_perm_b32 v227, v55, v54, s52                             // 0000000072A0: D1ED00E3 00D26D37
	v_cmp_u_f32_e64 s[48:49], v232, v232                       // 0000000072A8: D0480030 0003D1E8
	v_add3_u32 v50, v232, v53, 1                               // 0000000072B0: D1FF0032 02066BE8
	v_cndmask_b32_e64 v54, v50, v52, s[48:49]                  // 0000000072B8: D1000036 00C26932
	v_cmp_u_f32_e64 s[48:49], v233, v233                       // 0000000072C0: D0480030 0003D3E9
	v_add3_u32 v50, v233, v53, 1                               // 0000000072C8: D1FF0032 02066BE9
	v_cndmask_b32_e64 v55, v50, v52, s[48:49]                  // 0000000072D0: D1000037 00C26932
	v_perm_b32 v228, v55, v54, s52                             // 0000000072D8: D1ED00E4 00D26D37
	v_cmp_u_f32_e64 s[48:49], v234, v234                       // 0000000072E0: D0480030 0003D5EA
	v_add3_u32 v50, v234, v53, 1                               // 0000000072E8: D1FF0032 02066BEA
	v_cndmask_b32_e64 v54, v50, v52, s[48:49]                  // 0000000072F0: D1000036 00C26932
	v_cmp_u_f32_e64 s[48:49], v235, v235                       // 0000000072F8: D0480030 0003D7EB
	v_add3_u32 v50, v235, v53, 1                               // 000000007300: D1FF0032 02066BEB
	v_cndmask_b32_e64 v55, v50, v52, s[48:49]                  // 000000007308: D1000037 00C26932
	v_perm_b32 v229, v55, v54, s52                             // 000000007310: D1ED00E5 00D26D37
	v_cmp_u_f32_e64 s[48:49], v236, v236                       // 000000007318: D0480030 0003D9EC
	v_add3_u32 v50, v236, v53, 1                               // 000000007320: D1FF0032 02066BEC
	v_cndmask_b32_e64 v54, v50, v52, s[48:49]                  // 000000007328: D1000036 00C26932
	v_cmp_u_f32_e64 s[48:49], v237, v237                       // 000000007330: D0480030 0003DBED
	v_add3_u32 v50, v237, v53, 1                               // 000000007338: D1FF0032 02066BED
	v_cndmask_b32_e64 v55, v50, v52, s[48:49]                  // 000000007340: D1000037 00C26932
	v_perm_b32 v230, v55, v54, s52                             // 000000007348: D1ED00E6 00D26D37
	v_cmp_u_f32_e64 s[48:49], v238, v238                       // 000000007350: D0480030 0003DDEE
	v_add3_u32 v50, v238, v53, 1                               // 000000007358: D1FF0032 02066BEE
	v_cndmask_b32_e64 v54, v50, v52, s[48:49]                  // 000000007360: D1000036 00C26932
	v_cmp_u_f32_e64 s[48:49], v239, v239                       // 000000007368: D0480030 0003DFEF
	v_add3_u32 v50, v239, v53, 1                               // 000000007370: D1FF0032 02066BEF
	v_cndmask_b32_e64 v55, v50, v52, s[48:49]                  // 000000007378: D1000037 00C26932
	v_perm_b32 v231, v55, v54, s52                             // 000000007380: D1ED00E7 00D26D37
	v_cmp_u_f32_e64 s[48:49], v240, v240                       // 000000007388: D0480030 0003E1F0
	v_add3_u32 v50, v240, v53, 1                               // 000000007390: D1FF0032 02066BF0
	v_cndmask_b32_e64 v54, v50, v52, s[48:49]                  // 000000007398: D1000036 00C26932
	v_cmp_u_f32_e64 s[48:49], v241, v241                       // 0000000073A0: D0480030 0003E3F1
	v_add3_u32 v50, v241, v53, 1                               // 0000000073A8: D1FF0032 02066BF1
	v_cndmask_b32_e64 v55, v50, v52, s[48:49]                  // 0000000073B0: D1000037 00C26932
	v_perm_b32 v232, v55, v54, s52                             // 0000000073B8: D1ED00E8 00D26D37
	v_cmp_u_f32_e64 s[48:49], v242, v242                       // 0000000073C0: D0480030 0003E5F2
	v_add3_u32 v50, v242, v53, 1                               // 0000000073C8: D1FF0032 02066BF2
	v_cndmask_b32_e64 v54, v50, v52, s[48:49]                  // 0000000073D0: D1000036 00C26932
	v_cmp_u_f32_e64 s[48:49], v243, v243                       // 0000000073D8: D0480030 0003E7F3
	v_add3_u32 v50, v243, v53, 1                               // 0000000073E0: D1FF0032 02066BF3
	v_cndmask_b32_e64 v55, v50, v52, s[48:49]                  // 0000000073E8: D1000037 00C26932
	v_perm_b32 v233, v55, v54, s52                             // 0000000073F0: D1ED00E9 00D26D37
	v_cmp_u_f32_e64 s[48:49], v244, v244                       // 0000000073F8: D0480030 0003E9F4
	v_add3_u32 v50, v244, v53, 1                               // 000000007400: D1FF0032 02066BF4
	v_cndmask_b32_e64 v54, v50, v52, s[48:49]                  // 000000007408: D1000036 00C26932
	v_cmp_u_f32_e64 s[48:49], v245, v245                       // 000000007410: D0480030 0003EBF5
	v_add3_u32 v50, v245, v53, 1                               // 000000007418: D1FF0032 02066BF5
	v_cndmask_b32_e64 v55, v50, v52, s[48:49]                  // 000000007420: D1000037 00C26932
	v_perm_b32 v234, v55, v54, s52                             // 000000007428: D1ED00EA 00D26D37
	v_cmp_u_f32_e64 s[48:49], v246, v246                       // 000000007430: D0480030 0003EDF6
	v_add3_u32 v50, v246, v53, 1                               // 000000007438: D1FF0032 02066BF6
	v_cndmask_b32_e64 v54, v50, v52, s[48:49]                  // 000000007440: D1000036 00C26932
	v_cmp_u_f32_e64 s[48:49], v247, v247                       // 000000007448: D0480030 0003EFF7
	v_add3_u32 v50, v247, v53, 1                               // 000000007450: D1FF0032 02066BF7
	v_cndmask_b32_e64 v55, v50, v52, s[48:49]                  // 000000007458: D1000037 00C26932
	v_perm_b32 v235, v55, v54, s52                             // 000000007460: D1ED00EB 00D26D37
	v_cmp_u_f32_e64 s[48:49], v248, v248                       // 000000007468: D0480030 0003F1F8
	v_add3_u32 v50, v248, v53, 1                               // 000000007470: D1FF0032 02066BF8
	v_cndmask_b32_e64 v54, v50, v52, s[48:49]                  // 000000007478: D1000036 00C26932
	v_cmp_u_f32_e64 s[48:49], v249, v249                       // 000000007480: D0480030 0003F3F9
	v_add3_u32 v50, v249, v53, 1                               // 000000007488: D1FF0032 02066BF9
	v_cndmask_b32_e64 v55, v50, v52, s[48:49]                  // 000000007490: D1000037 00C26932
	v_perm_b32 v236, v55, v54, s52                             // 000000007498: D1ED00EC 00D26D37
	v_cmp_u_f32_e64 s[48:49], v250, v250                       // 0000000074A0: D0480030 0003F5FA
	v_add3_u32 v50, v250, v53, 1                               // 0000000074A8: D1FF0032 02066BFA
	v_cndmask_b32_e64 v54, v50, v52, s[48:49]                  // 0000000074B0: D1000036 00C26932
	v_cmp_u_f32_e64 s[48:49], v251, v251                       // 0000000074B8: D0480030 0003F7FB
	v_add3_u32 v50, v251, v53, 1                               // 0000000074C0: D1FF0032 02066BFB
	v_cndmask_b32_e64 v55, v50, v52, s[48:49]                  // 0000000074C8: D1000037 00C26932
	v_perm_b32 v237, v55, v54, s52                             // 0000000074D0: D1ED00ED 00D26D37
	v_cmp_u_f32_e64 s[48:49], v252, v252                       // 0000000074D8: D0480030 0003F9FC
	v_add3_u32 v50, v252, v53, 1                               // 0000000074E0: D1FF0032 02066BFC
	v_cndmask_b32_e64 v54, v50, v52, s[48:49]                  // 0000000074E8: D1000036 00C26932
	v_cmp_u_f32_e64 s[48:49], v253, v253                       // 0000000074F0: D0480030 0003FBFD
	v_add3_u32 v50, v253, v53, 1                               // 0000000074F8: D1FF0032 02066BFD
	v_cndmask_b32_e64 v55, v50, v52, s[48:49]                  // 000000007500: D1000037 00C26932
	v_perm_b32 v238, v55, v54, s52                             // 000000007508: D1ED00EE 00D26D37
	v_cmp_u_f32_e64 s[48:49], v254, v254                       // 000000007510: D0480030 0003FDFE
	v_add3_u32 v50, v254, v53, 1                               // 000000007518: D1FF0032 02066BFE
	v_cndmask_b32_e64 v54, v50, v52, s[48:49]                  // 000000007520: D1000036 00C26932
	v_cmp_u_f32_e64 s[48:49], v255, v255                       // 000000007528: D0480030 0003FFFF
	v_add3_u32 v50, v255, v53, 1                               // 000000007530: D1FF0032 02066BFF
	v_cndmask_b32_e64 v55, v50, v52, s[48:49]                  // 000000007538: D1000037 00C26932
	v_perm_b32 v239, v55, v54, s52                             // 000000007540: D1ED00EF 00D26D37
	s_setvskip s20, 0                                          // 000000007548: BF108014
	global_atomic_pk_add_bf16 v80, v64, s[8:9]                 // 00000000754C: DD488000 00084050
	s_setvskip 0, 0                                            // 000000007554: BF108080
	s_setvskip s20, 0                                          // 000000007558: BF108014
	global_atomic_pk_add_bf16 v80, v65, s[8:9] offset:256      // 00000000755C: DD488100 00084150
	s_setvskip 0, 0                                            // 000000007564: BF108080
	s_setvskip s20, 1                                          // 000000007568: BF108114
	global_atomic_pk_add_bf16 v82, v66, s[8:9]                 // 00000000756C: DD488000 00084252
	s_setvskip 0, 0                                            // 000000007574: BF108080
	s_setvskip s20, 1                                          // 000000007578: BF108114
	global_atomic_pk_add_bf16 v82, v67, s[8:9] offset:256      // 00000000757C: DD488100 00084352
	s_setvskip 0, 0                                            // 000000007584: BF108080
	s_setvskip s20, 2                                          // 000000007588: BF108214
	global_atomic_pk_add_bf16 v84, v68, s[8:9]                 // 00000000758C: DD488000 00084454
	s_setvskip 0, 0                                            // 000000007594: BF108080
	s_setvskip s20, 2                                          // 000000007598: BF108214
	global_atomic_pk_add_bf16 v84, v69, s[8:9] offset:256      // 00000000759C: DD488100 00084554
	s_setvskip 0, 0                                            // 0000000075A4: BF108080
	s_setvskip s20, 3                                          // 0000000075A8: BF108314
	global_atomic_pk_add_bf16 v86, v70, s[8:9]                 // 0000000075AC: DD488000 00084656
	s_setvskip 0, 0                                            // 0000000075B4: BF108080
	s_setvskip s20, 3                                          // 0000000075B8: BF108314
	global_atomic_pk_add_bf16 v86, v71, s[8:9] offset:256      // 0000000075BC: DD488100 00084756
	s_setvskip 0, 0                                            // 0000000075C4: BF108080
	s_setvskip s20, 4                                          // 0000000075C8: BF108414
	global_atomic_pk_add_bf16 v88, v72, s[8:9]                 // 0000000075CC: DD488000 00084858
	s_setvskip 0, 0                                            // 0000000075D4: BF108080
	s_setvskip s20, 4                                          // 0000000075D8: BF108414
	global_atomic_pk_add_bf16 v88, v73, s[8:9] offset:256      // 0000000075DC: DD488100 00084958
	s_setvskip 0, 0                                            // 0000000075E4: BF108080
	s_setvskip s20, 5                                          // 0000000075E8: BF108514
	global_atomic_pk_add_bf16 v90, v74, s[8:9]                 // 0000000075EC: DD488000 00084A5A
	s_setvskip 0, 0                                            // 0000000075F4: BF108080
	s_setvskip s20, 5                                          // 0000000075F8: BF108514
	global_atomic_pk_add_bf16 v90, v75, s[8:9] offset:256      // 0000000075FC: DD488100 00084B5A
	s_setvskip 0, 0                                            // 000000007604: BF108080
	s_setvskip s20, 6                                          // 000000007608: BF108614
	global_atomic_pk_add_bf16 v92, v76, s[8:9]                 // 00000000760C: DD488000 00084C5C
	s_setvskip 0, 0                                            // 000000007614: BF108080
	s_setvskip s20, 6                                          // 000000007618: BF108614
	global_atomic_pk_add_bf16 v92, v77, s[8:9] offset:256      // 00000000761C: DD488100 00084D5C
	s_setvskip 0, 0                                            // 000000007624: BF108080
	s_setvskip s20, 7                                          // 000000007628: BF108714
	global_atomic_pk_add_bf16 v94, v78, s[8:9]                 // 00000000762C: DD488000 00084E5E
	s_setvskip 0, 0                                            // 000000007634: BF108080
	s_setvskip s20, 7                                          // 000000007638: BF108714
	global_atomic_pk_add_bf16 v94, v79, s[8:9] offset:256      // 00000000763C: DD488100 00084F5E
	s_setvskip 0, 0                                            // 000000007644: BF108080
	s_cmp_ge_u32 s80, 0x200                                    // 000000007648: BF09FF50 00000200
	s_cselect_b32 s59, 0x200, s59                              // 000000007650: 853B3BFF 00000200
	s_add_u32 s8, s59, s8                                      // 000000007658: 8008083B
	s_addc_u32 s9, 0, s9                                       // 00000000765C: 82090980
	s_addk_i32 s80, 0x100                                      // 000000007660: B7500100
	s_cmp_lt_i32 s80, s81                                      // 000000007664: BF045150
	s_cbranch_scc0 label_121C                                  // 000000007668: BF840001
	s_branch label_0B73                                        // 00000000766C: BF82F957

0000000000007670 <label_121C>:
	s_nop 0                                                    // 000000007670: BF800000
	s_nop 0                                                    // 000000007674: BF800000
	s_branch label_2194                                        // 000000007678: BF820F75

000000000000767c <label_121F>:
	s_waitcnt vmcnt(24) lgkmcnt(0)                             // 00000000767C: BF8C4078
	s_barrier                                                  // 000000007680: BF8A0000
	v_mfma_i32_16x16x32_i8 v[128:131], a[0:1], v[192:193], v[128:131]// 000000007684: D3D70080 0E038100
	buffer_load_dwordx4 a[128:131], v34, s[24:27], 0 offen     // 00000000768C: E05C1000 80868022
	v_mfma_i32_16x16x32_i8 v[128:131], a[2:3], v[194:195], v[128:131]// 000000007694: D3D70080 0E038502
	v_mfma_i32_16x16x32_i8 v[128:131], a[4:5], v[196:197], v[128:131]// 00000000769C: D3D70080 0E038904
	buffer_load_dword v26, s[20:23], 0 offen lds               // 0000000076A4: E0511000 8005001A
	s_add_u32 m0, 0x100, s50                                   // 0000000076AC: 807C32FF 00000100
	v_mfma_i32_16x16x32_i8 v[128:131], a[6:7], v[198:199], v[128:131]// 0000000076B4: D3D70080 0E038D06
	v_mfma_i32_16x16x32_i8 v[128:131], a[8:9], v[200:201], v[128:131]// 0000000076BC: D3D70080 0E039108
	buffer_load_dwordx4 a[132:135], v34, s[24:27], 0 offen offset:1024// 0000000076C4: E05C1400 80868422
	v_mfma_i32_16x16x32_i8 v[128:131], a[10:11], v[202:203], v[128:131]// 0000000076CC: D3D70080 0E03950A
	v_mfma_i32_16x16x32_i8 v[128:131], a[12:13], v[204:205], v[128:131]// 0000000076D4: D3D70080 0E03990C
	buffer_load_dword v27, s[20:23], 0 offen lds               // 0000000076DC: E0511000 8005001B
	s_add_u32 m0, 0x200, s50                                   // 0000000076E4: 807C32FF 00000200
	v_mfma_i32_16x16x32_i8 v[128:131], a[14:15], v[206:207], v[128:131]// 0000000076EC: D3D70080 0E039D0E
	v_mfma_i32_16x16x32_i8 v[132:135], a[0:1], v[208:209], v[132:135]// 0000000076F4: D3D70084 0E13A100
	buffer_load_dwordx4 a[136:139], v34, s[24:27], 0 offen offset:2048// 0000000076FC: E05C1800 80868822
	v_mfma_i32_16x16x32_i8 v[132:135], a[2:3], v[210:211], v[132:135]// 000000007704: D3D70084 0E13A502
	v_mfma_i32_16x16x32_i8 v[132:135], a[4:5], v[212:213], v[132:135]// 00000000770C: D3D70084 0E13A904
	buffer_load_dword v28, s[20:23], 0 offen lds               // 000000007714: E0511000 8005001C
	s_add_u32 m0, 0x300, s50                                   // 00000000771C: 807C32FF 00000300
	v_mfma_i32_16x16x32_i8 v[132:135], a[6:7], v[214:215], v[132:135]// 000000007724: D3D70084 0E13AD06
	v_mfma_i32_16x16x32_i8 v[132:135], a[8:9], v[216:217], v[132:135]// 00000000772C: D3D70084 0E13B108
	buffer_load_dwordx4 a[140:143], v34, s[24:27], 0 offen offset:3072// 000000007734: E05C1C00 80868C22
	v_mfma_i32_16x16x32_i8 v[132:135], a[10:11], v[218:219], v[132:135]// 00000000773C: D3D70084 0E13B50A
	v_mfma_i32_16x16x32_i8 v[132:135], a[12:13], v[220:221], v[132:135]// 000000007744: D3D70084 0E13B90C
	buffer_load_dword v29, s[20:23], 0 offen lds               // 00000000774C: E0511000 8005001D
	s_add_u32 m0, 0x400, s50                                   // 000000007754: 807C32FF 00000400
	v_mfma_i32_16x16x32_i8 v[132:135], a[14:15], v[222:223], v[132:135]// 00000000775C: D3D70084 0E13BD0E
	v_mfma_i32_16x16x32_i8 v[136:139], a[16:17], v[192:193], v[136:139]// 000000007764: D3D70088 0E238110
	buffer_load_dwordx4 a[144:147], v35, s[24:27], 0 offen     // 00000000776C: E05C1000 80869023
	v_mfma_i32_16x16x32_i8 v[136:139], a[18:19], v[194:195], v[136:139]// 000000007774: D3D70088 0E238512
	v_mfma_i32_16x16x32_i8 v[136:139], a[20:21], v[196:197], v[136:139]// 00000000777C: D3D70088 0E238914
	buffer_load_dword v30, s[20:23], 0 offen lds               // 000000007784: E0511000 8005001E
	s_add_u32 m0, 0x500, s50                                   // 00000000778C: 807C32FF 00000500
	v_mfma_i32_16x16x32_i8 v[136:139], a[22:23], v[198:199], v[136:139]// 000000007794: D3D70088 0E238D16
	v_mfma_i32_16x16x32_i8 v[136:139], a[24:25], v[200:201], v[136:139]// 00000000779C: D3D70088 0E239118
	buffer_load_dwordx4 a[148:151], v35, s[24:27], 0 offen offset:1024// 0000000077A4: E05C1400 80869423
	v_mfma_i32_16x16x32_i8 v[136:139], a[26:27], v[202:203], v[136:139]// 0000000077AC: D3D70088 0E23951A
	v_mfma_i32_16x16x32_i8 v[136:139], a[28:29], v[204:205], v[136:139]// 0000000077B4: D3D70088 0E23991C
	buffer_load_dword v31, s[20:23], 0 offen lds               // 0000000077BC: E0511000 8005001F
	s_add_u32 m0, 0x600, s50                                   // 0000000077C4: 807C32FF 00000600
	v_mfma_i32_16x16x32_i8 v[136:139], a[30:31], v[206:207], v[136:139]// 0000000077CC: D3D70088 0E239D1E
	v_mfma_i32_16x16x32_i8 v[140:143], a[16:17], v[208:209], v[140:143]// 0000000077D4: D3D7008C 0E33A110
	buffer_load_dwordx4 a[152:155], v35, s[24:27], 0 offen offset:2048// 0000000077DC: E05C1800 80869823
	v_mfma_i32_16x16x32_i8 v[140:143], a[18:19], v[210:211], v[140:143]// 0000000077E4: D3D7008C 0E33A512
	v_mfma_i32_16x16x32_i8 v[140:143], a[20:21], v[212:213], v[140:143]// 0000000077EC: D3D7008C 0E33A914
	buffer_load_dword v32, s[20:23], 0 offen lds               // 0000000077F4: E0511000 80050020
	s_add_u32 m0, 0x700, s50                                   // 0000000077FC: 807C32FF 00000700
	v_mfma_i32_16x16x32_i8 v[140:143], a[22:23], v[214:215], v[140:143]// 000000007804: D3D7008C 0E33AD16
	v_mfma_i32_16x16x32_i8 v[140:143], a[24:25], v[216:217], v[140:143]// 00000000780C: D3D7008C 0E33B118
	buffer_load_dwordx4 a[156:159], v35, s[24:27], 0 offen offset:3072// 000000007814: E05C1C00 80869C23
	v_mfma_i32_16x16x32_i8 v[140:143], a[26:27], v[218:219], v[140:143]// 00000000781C: D3D7008C 0E33B51A
	v_mfma_i32_16x16x32_i8 v[140:143], a[28:29], v[220:221], v[140:143]// 000000007824: D3D7008C 0E33B91C
	buffer_load_dword v33, s[20:23], 0 offen lds               // 00000000782C: E0511000 80050021
	s_add_u32 m0, 0, s51                                       // 000000007834: 807C3380
	v_mfma_i32_16x16x32_i8 v[140:143], a[30:31], v[222:223], v[140:143]// 000000007838: D3D7008C 0E33BD1E
	s_waitcnt vmcnt(32)                                        // 000000007840: BF8C8F70
	v_mfma_i32_16x16x32_i8 v[144:147], a[32:33], v[192:193], v[144:147]// 000000007844: D3D70090 0E438120
	buffer_load_dwordx4 a[160:163], v36, s[24:27], 0 offen     // 00000000784C: E05C1000 8086A024
	v_mfma_i32_16x16x32_i8 v[144:147], a[34:35], v[194:195], v[144:147]// 000000007854: D3D70090 0E438522
	v_mfma_i32_16x16x32_i8 v[144:147], a[36:37], v[196:197], v[144:147]// 00000000785C: D3D70090 0E438924
	ds_read_b128 v[224:227], v2 offset:8320                    // 000000007864: D9FE2080 E0000002
	v_mfma_i32_16x16x32_i8 v[144:147], a[38:39], v[198:199], v[144:147]// 00000000786C: D3D70090 0E438D26
	v_mfma_i32_16x16x32_i8 v[144:147], a[40:41], v[200:201], v[144:147]// 000000007874: D3D70090 0E439128
	buffer_load_dwordx4 a[164:167], v36, s[24:27], 0 offen offset:1024// 00000000787C: E05C1400 8086A424
	v_mfma_i32_16x16x32_i8 v[144:147], a[42:43], v[202:203], v[144:147]// 000000007884: D3D70090 0E43952A
	v_mfma_i32_16x16x32_i8 v[144:147], a[44:45], v[204:205], v[144:147]// 00000000788C: D3D70090 0E43992C
	ds_read_b128 v[228:231], v2 offset:8384                    // 000000007894: D9FE20C0 E4000002
	v_mfma_i32_16x16x32_i8 v[144:147], a[46:47], v[206:207], v[144:147]// 00000000789C: D3D70090 0E439D2E
	v_mfma_i32_16x16x32_i8 v[148:151], a[32:33], v[208:209], v[148:151]// 0000000078A4: D3D70094 0E53A120
	buffer_load_dwordx4 a[168:171], v36, s[24:27], 0 offen offset:2048// 0000000078AC: E05C1800 8086A824
	v_mfma_i32_16x16x32_i8 v[148:151], a[34:35], v[210:211], v[148:151]// 0000000078B4: D3D70094 0E53A522
	v_mfma_i32_16x16x32_i8 v[148:151], a[36:37], v[212:213], v[148:151]// 0000000078BC: D3D70094 0E53A924
	ds_read_b128 v[232:235], v2 offset:8448                    // 0000000078C4: D9FE2100 E8000002
	v_mfma_i32_16x16x32_i8 v[148:151], a[38:39], v[214:215], v[148:151]// 0000000078CC: D3D70094 0E53AD26
	v_mfma_i32_16x16x32_i8 v[148:151], a[40:41], v[216:217], v[148:151]// 0000000078D4: D3D70094 0E53B128
	buffer_load_dwordx4 a[172:175], v36, s[24:27], 0 offen offset:3072// 0000000078DC: E05C1C00 8086AC24
	v_mfma_i32_16x16x32_i8 v[148:151], a[42:43], v[218:219], v[148:151]// 0000000078E4: D3D70094 0E53B52A
	v_mfma_i32_16x16x32_i8 v[148:151], a[44:45], v[220:221], v[148:151]// 0000000078EC: D3D70094 0E53B92C
	ds_read_b128 v[236:239], v2 offset:8512                    // 0000000078F4: D9FE2140 EC000002
	v_mfma_i32_16x16x32_i8 v[148:151], a[46:47], v[222:223], v[148:151]// 0000000078FC: D3D70094 0E53BD2E
	v_mfma_i32_16x16x32_i8 v[152:155], a[48:49], v[192:193], v[152:155]// 000000007904: D3D70098 0E638130
	buffer_load_dwordx4 a[176:179], v37, s[24:27], 0 offen     // 00000000790C: E05C1000 8086B025
	v_mfma_i32_16x16x32_i8 v[152:155], a[50:51], v[194:195], v[152:155]// 000000007914: D3D70098 0E638532
	v_mfma_i32_16x16x32_i8 v[152:155], a[52:53], v[196:197], v[152:155]// 00000000791C: D3D70098 0E638934
	ds_read_b128 v[240:243], v2 offset:9344                    // 000000007924: D9FE2480 F0000002
	v_mfma_i32_16x16x32_i8 v[152:155], a[54:55], v[198:199], v[152:155]// 00000000792C: D3D70098 0E638D36
	v_mfma_i32_16x16x32_i8 v[152:155], a[56:57], v[200:201], v[152:155]// 000000007934: D3D70098 0E639138
	buffer_load_dwordx4 a[180:183], v37, s[24:27], 0 offen offset:1024// 00000000793C: E05C1400 8086B425
	v_mfma_i32_16x16x32_i8 v[152:155], a[58:59], v[202:203], v[152:155]// 000000007944: D3D70098 0E63953A
	v_mfma_i32_16x16x32_i8 v[152:155], a[60:61], v[204:205], v[152:155]// 00000000794C: D3D70098 0E63993C
	ds_read_b128 v[244:247], v2 offset:9408                    // 000000007954: D9FE24C0 F4000002
	v_mfma_i32_16x16x32_i8 v[152:155], a[62:63], v[206:207], v[152:155]// 00000000795C: D3D70098 0E639D3E
	v_mfma_i32_16x16x32_i8 v[156:159], a[48:49], v[208:209], v[156:159]// 000000007964: D3D7009C 0E73A130
	buffer_load_dwordx4 a[184:187], v37, s[24:27], 0 offen offset:2048// 00000000796C: E05C1800 8086B825
	v_mfma_i32_16x16x32_i8 v[156:159], a[50:51], v[210:211], v[156:159]// 000000007974: D3D7009C 0E73A532
	v_mfma_i32_16x16x32_i8 v[156:159], a[52:53], v[212:213], v[156:159]// 00000000797C: D3D7009C 0E73A934
	ds_read_b128 v[248:251], v2 offset:9472                    // 000000007984: D9FE2500 F8000002
	v_mfma_i32_16x16x32_i8 v[156:159], a[54:55], v[214:215], v[156:159]// 00000000798C: D3D7009C 0E73AD36
	v_mfma_i32_16x16x32_i8 v[156:159], a[56:57], v[216:217], v[156:159]// 000000007994: D3D7009C 0E73B138
	buffer_load_dwordx4 a[188:191], v37, s[24:27], 0 offen offset:3072// 00000000799C: E05C1C00 8086BC25
	v_mfma_i32_16x16x32_i8 v[156:159], a[58:59], v[218:219], v[156:159]// 0000000079A4: D3D7009C 0E73B53A
	v_mfma_i32_16x16x32_i8 v[156:159], a[60:61], v[220:221], v[156:159]// 0000000079AC: D3D7009C 0E73B93C
	ds_read_b128 v[252:255], v2 offset:9536                    // 0000000079B4: D9FE2540 FC000002
	v_mfma_i32_16x16x32_i8 v[156:159], a[62:63], v[222:223], v[156:159]// 0000000079BC: D3D7009C 0E73BD3E
	s_waitcnt vmcnt(32)                                        // 0000000079C4: BF8C8F70
	v_mfma_i32_16x16x32_i8 v[160:163], a[64:65], v[192:193], v[160:163]// 0000000079C8: D3D700A0 0E838140
	buffer_load_dwordx4 a[192:195], v38, s[24:27], 0 offen     // 0000000079D0: E05C1000 8086C026
	v_mfma_i32_16x16x32_i8 v[160:163], a[66:67], v[194:195], v[160:163]// 0000000079D8: D3D700A0 0E838542
	v_mfma_i32_16x16x32_i8 v[160:163], a[68:69], v[196:197], v[160:163]// 0000000079E0: D3D700A0 0E838944
	s_add_u32 s60, 0x300, s80                                  // 0000000079E8: 803C50FF 00000300
	s_cmp_lt_u32 s60, s81                                      // 0000000079F0: BF0A513C
	s_cselect_b32 s57, s57, 0                                  // 0000000079F4: 85398039
	v_mfma_i32_16x16x32_i8 v[160:163], a[70:71], v[198:199], v[160:163]// 0000000079F8: D3D700A0 0E838D46
	v_mfma_i32_16x16x32_i8 v[160:163], a[72:73], v[200:201], v[160:163]// 000000007A00: D3D700A0 0E839148
	buffer_load_dwordx4 a[196:199], v38, s[24:27], 0 offen offset:1024// 000000007A08: E05C1400 8086C426
	v_mfma_i32_16x16x32_i8 v[160:163], a[74:75], v[202:203], v[160:163]// 000000007A10: D3D700A0 0E83954A
	v_mfma_i32_16x16x32_i8 v[160:163], a[76:77], v[204:205], v[160:163]// 000000007A18: D3D700A0 0E83994C
	s_add_u32 s60, 0x200, s80                                  // 000000007A20: 803C50FF 00000200
	s_cmp_lt_u32 s60, s81                                      // 000000007A28: BF0A513C
	s_cselect_b32 s58, s58, 0                                  // 000000007A2C: 853A803A
	v_mfma_i32_16x16x32_i8 v[160:163], a[78:79], v[206:207], v[160:163]// 000000007A30: D3D700A0 0E839D4E
	v_mfma_i32_16x16x32_i8 v[164:167], a[64:65], v[208:209], v[164:167]// 000000007A38: D3D700A4 0E93A140
	buffer_load_dwordx4 a[200:203], v38, s[24:27], 0 offen offset:2048// 000000007A40: E05C1800 8086C826
	v_mfma_i32_16x16x32_i8 v[164:167], a[66:67], v[210:211], v[164:167]// 000000007A48: D3D700A4 0E93A542
	v_mfma_i32_16x16x32_i8 v[164:167], a[68:69], v[212:213], v[164:167]// 000000007A50: D3D700A4 0E93A944
	s_add_u32 s20, s57, s20                                    // 000000007A58: 80141439
	s_addc_u32 s21, 0, s21                                     // 000000007A5C: 82151580
	v_mfma_i32_16x16x32_i8 v[164:167], a[70:71], v[214:215], v[164:167]// 000000007A60: D3D700A4 0E93AD46
	v_mfma_i32_16x16x32_i8 v[164:167], a[72:73], v[216:217], v[164:167]// 000000007A68: D3D700A4 0E93B148
	buffer_load_dwordx4 a[204:207], v38, s[24:27], 0 offen offset:3072// 000000007A70: E05C1C00 8086CC26
	v_mfma_i32_16x16x32_i8 v[164:167], a[74:75], v[218:219], v[164:167]// 000000007A78: D3D700A4 0E93B54A
	v_mfma_i32_16x16x32_i8 v[164:167], a[76:77], v[220:221], v[164:167]// 000000007A80: D3D700A4 0E93B94C
	v_mfma_i32_16x16x32_i8 v[164:167], a[78:79], v[222:223], v[164:167]// 000000007A88: D3D700A4 0E93BD4E
	v_mfma_i32_16x16x32_i8 v[168:171], a[80:81], v[192:193], v[168:171]// 000000007A90: D3D700A8 0EA38150
	buffer_load_dwordx4 a[208:211], v39, s[24:27], 0 offen     // 000000007A98: E05C1000 8086D027
	v_mfma_i32_16x16x32_i8 v[168:171], a[82:83], v[194:195], v[168:171]// 000000007AA0: D3D700A8 0EA38552
	v_mfma_i32_16x16x32_i8 v[168:171], a[84:85], v[196:197], v[168:171]// 000000007AA8: D3D700A8 0EA38954
	v_mfma_i32_16x16x32_i8 v[168:171], a[86:87], v[198:199], v[168:171]// 000000007AB0: D3D700A8 0EA38D56
	v_mfma_i32_16x16x32_i8 v[168:171], a[88:89], v[200:201], v[168:171]// 000000007AB8: D3D700A8 0EA39158
	buffer_load_dwordx4 a[212:215], v39, s[24:27], 0 offen offset:1024// 000000007AC0: E05C1400 8086D427
	v_mfma_i32_16x16x32_i8 v[168:171], a[90:91], v[202:203], v[168:171]// 000000007AC8: D3D700A8 0EA3955A
	v_mfma_i32_16x16x32_i8 v[168:171], a[92:93], v[204:205], v[168:171]// 000000007AD0: D3D700A8 0EA3995C
	v_mfma_i32_16x16x32_i8 v[168:171], a[94:95], v[206:207], v[168:171]// 000000007AD8: D3D700A8 0EA39D5E
	v_mfma_i32_16x16x32_i8 v[172:175], a[80:81], v[208:209], v[172:175]// 000000007AE0: D3D700AC 0EB3A150
	buffer_load_dwordx4 a[216:219], v39, s[24:27], 0 offen offset:2048// 000000007AE8: E05C1800 8086D827
	v_mfma_i32_16x16x32_i8 v[172:175], a[82:83], v[210:211], v[172:175]// 000000007AF0: D3D700AC 0EB3A552
	v_mfma_i32_16x16x32_i8 v[172:175], a[84:85], v[212:213], v[172:175]// 000000007AF8: D3D700AC 0EB3A954
	v_mfma_i32_16x16x32_i8 v[172:175], a[86:87], v[214:215], v[172:175]// 000000007B00: D3D700AC 0EB3AD56
	v_mfma_i32_16x16x32_i8 v[172:175], a[88:89], v[216:217], v[172:175]// 000000007B08: D3D700AC 0EB3B158
	buffer_load_dwordx4 a[220:223], v39, s[24:27], 0 offen offset:3072// 000000007B10: E05C1C00 8086DC27
	v_mfma_i32_16x16x32_i8 v[172:175], a[90:91], v[218:219], v[172:175]// 000000007B18: D3D700AC 0EB3B55A
	v_mfma_i32_16x16x32_i8 v[172:175], a[92:93], v[220:221], v[172:175]// 000000007B20: D3D700AC 0EB3B95C
	v_mfma_i32_16x16x32_i8 v[172:175], a[94:95], v[222:223], v[172:175]// 000000007B28: D3D700AC 0EB3BD5E
	s_waitcnt vmcnt(32)                                        // 000000007B30: BF8C8F70
	v_mfma_i32_16x16x32_i8 v[176:179], a[96:97], v[192:193], v[176:179]// 000000007B34: D3D700B0 0EC38160
	buffer_load_dwordx4 a[224:227], v40, s[24:27], 0 offen     // 000000007B3C: E05C1000 8086E028
	v_mfma_i32_16x16x32_i8 v[176:179], a[98:99], v[194:195], v[176:179]// 000000007B44: D3D700B0 0EC38562
	v_mfma_i32_16x16x32_i8 v[176:179], a[100:101], v[196:197], v[176:179]// 000000007B4C: D3D700B0 0EC38964
	v_mfma_i32_16x16x32_i8 v[176:179], a[102:103], v[198:199], v[176:179]// 000000007B54: D3D700B0 0EC38D66
	v_mfma_i32_16x16x32_i8 v[176:179], a[104:105], v[200:201], v[176:179]// 000000007B5C: D3D700B0 0EC39168
	buffer_load_dwordx4 a[228:231], v40, s[24:27], 0 offen offset:1024// 000000007B64: E05C1400 8086E428
	v_mfma_i32_16x16x32_i8 v[176:179], a[106:107], v[202:203], v[176:179]// 000000007B6C: D3D700B0 0EC3956A
	v_mfma_i32_16x16x32_i8 v[176:179], a[108:109], v[204:205], v[176:179]// 000000007B74: D3D700B0 0EC3996C
	v_mfma_i32_16x16x32_i8 v[176:179], a[110:111], v[206:207], v[176:179]// 000000007B7C: D3D700B0 0EC39D6E
	v_mfma_i32_16x16x32_i8 v[180:183], a[96:97], v[208:209], v[180:183]// 000000007B84: D3D700B4 0ED3A160
	buffer_load_dwordx4 a[232:235], v40, s[24:27], 0 offen offset:2048// 000000007B8C: E05C1800 8086E828
	v_mfma_i32_16x16x32_i8 v[180:183], a[98:99], v[210:211], v[180:183]// 000000007B94: D3D700B4 0ED3A562
	v_mfma_i32_16x16x32_i8 v[180:183], a[100:101], v[212:213], v[180:183]// 000000007B9C: D3D700B4 0ED3A964
	v_mfma_i32_16x16x32_i8 v[180:183], a[102:103], v[214:215], v[180:183]// 000000007BA4: D3D700B4 0ED3AD66
	v_mfma_i32_16x16x32_i8 v[180:183], a[104:105], v[216:217], v[180:183]// 000000007BAC: D3D700B4 0ED3B168
	buffer_load_dwordx4 a[236:239], v40, s[24:27], 0 offen offset:3072// 000000007BB4: E05C1C00 8086EC28
	v_mfma_i32_16x16x32_i8 v[180:183], a[106:107], v[218:219], v[180:183]// 000000007BBC: D3D700B4 0ED3B56A
	v_mfma_i32_16x16x32_i8 v[180:183], a[108:109], v[220:221], v[180:183]// 000000007BC4: D3D700B4 0ED3B96C
	v_mfma_i32_16x16x32_i8 v[180:183], a[110:111], v[222:223], v[180:183]// 000000007BCC: D3D700B4 0ED3BD6E
	v_mfma_i32_16x16x32_i8 v[184:187], a[112:113], v[192:193], v[184:187]// 000000007BD4: D3D700B8 0EE38170
	buffer_load_dwordx4 a[240:243], v41, s[24:27], 0 offen     // 000000007BDC: E05C1000 8086F029
	v_mfma_i32_16x16x32_i8 v[184:187], a[114:115], v[194:195], v[184:187]// 000000007BE4: D3D700B8 0EE38572
	v_mfma_i32_16x16x32_i8 v[184:187], a[116:117], v[196:197], v[184:187]// 000000007BEC: D3D700B8 0EE38974
	v_mfma_i32_16x16x32_i8 v[184:187], a[118:119], v[198:199], v[184:187]// 000000007BF4: D3D700B8 0EE38D76
	v_mfma_i32_16x16x32_i8 v[184:187], a[120:121], v[200:201], v[184:187]// 000000007BFC: D3D700B8 0EE39178
	buffer_load_dwordx4 a[244:247], v41, s[24:27], 0 offen offset:1024// 000000007C04: E05C1400 8086F429
	v_mfma_i32_16x16x32_i8 v[184:187], a[122:123], v[202:203], v[184:187]// 000000007C0C: D3D700B8 0EE3957A
	v_mfma_i32_16x16x32_i8 v[184:187], a[124:125], v[204:205], v[184:187]// 000000007C14: D3D700B8 0EE3997C
	v_mfma_i32_16x16x32_i8 v[184:187], a[126:127], v[206:207], v[184:187]// 000000007C1C: D3D700B8 0EE39D7E
	v_mfma_i32_16x16x32_i8 v[188:191], a[112:113], v[208:209], v[188:191]// 000000007C24: D3D700BC 0EF3A170
	buffer_load_dwordx4 a[248:251], v41, s[24:27], 0 offen offset:2048// 000000007C2C: E05C1800 8086F829
	v_mfma_i32_16x16x32_i8 v[188:191], a[114:115], v[210:211], v[188:191]// 000000007C34: D3D700BC 0EF3A572
	v_mfma_i32_16x16x32_i8 v[188:191], a[116:117], v[212:213], v[188:191]// 000000007C3C: D3D700BC 0EF3A974
	v_mfma_i32_16x16x32_i8 v[188:191], a[118:119], v[214:215], v[188:191]// 000000007C44: D3D700BC 0EF3AD76
	v_mfma_i32_16x16x32_i8 v[188:191], a[120:121], v[216:217], v[188:191]// 000000007C4C: D3D700BC 0EF3B178
	buffer_load_dwordx4 a[252:255], v41, s[24:27], 0 offen offset:3072// 000000007C54: E05C1C00 8086FC29
	v_mfma_i32_16x16x32_i8 v[188:191], a[122:123], v[218:219], v[188:191]// 000000007C5C: D3D700BC 0EF3B57A
	v_mfma_i32_16x16x32_i8 v[188:191], a[124:125], v[220:221], v[188:191]// 000000007C64: D3D700BC 0EF3B97C
	s_add_u32 s24, s58, s24                                    // 000000007C6C: 8018183A
	s_addc_u32 s25, 0, s25                                     // 000000007C70: 82191980
	v_mfma_i32_16x16x32_i8 v[188:191], a[126:127], v[222:223], v[188:191]// 000000007C74: D3D700BC 0EF3BD7E
	s_addk_i32 s80, 0x100                                      // 000000007C7C: B7500100
	s_cmp_lt_i32 s80, s81                                      // 000000007C80: BF045150
	s_cbranch_scc0 label_1526                                  // 000000007C84: BF840184
	s_waitcnt vmcnt(24) lgkmcnt(0)                             // 000000007C88: BF8C4078
	s_barrier                                                  // 000000007C8C: BF8A0000
	v_mfma_i32_16x16x32_i8 v[128:131], a[128:129], v[224:225], v[128:131]// 000000007C90: D3D70080 0E03C180
	buffer_load_dwordx4 a[0:3], v34, s[24:27], 0 offen         // 000000007C98: E05C1000 80860022
	v_mfma_i32_16x16x32_i8 v[128:131], a[130:131], v[226:227], v[128:131]// 000000007CA0: D3D70080 0E03C582
	v_mfma_i32_16x16x32_i8 v[128:131], a[132:133], v[228:229], v[128:131]// 000000007CA8: D3D70080 0E03C984
	buffer_load_dword v26, s[20:23], 0 offen lds               // 000000007CB0: E0511000 8005001A
	s_add_u32 m0, 0x100, s51                                   // 000000007CB8: 807C33FF 00000100
	v_mfma_i32_16x16x32_i8 v[128:131], a[134:135], v[230:231], v[128:131]// 000000007CC0: D3D70080 0E03CD86
	v_mfma_i32_16x16x32_i8 v[128:131], a[136:137], v[232:233], v[128:131]// 000000007CC8: D3D70080 0E03D188
	buffer_load_dwordx4 a[4:7], v34, s[24:27], 0 offen offset:1024// 000000007CD0: E05C1400 80860422
	v_mfma_i32_16x16x32_i8 v[128:131], a[138:139], v[234:235], v[128:131]// 000000007CD8: D3D70080 0E03D58A
	v_mfma_i32_16x16x32_i8 v[128:131], a[140:141], v[236:237], v[128:131]// 000000007CE0: D3D70080 0E03D98C
	buffer_load_dword v27, s[20:23], 0 offen lds               // 000000007CE8: E0511000 8005001B
	s_add_u32 m0, 0x200, s51                                   // 000000007CF0: 807C33FF 00000200
	v_mfma_i32_16x16x32_i8 v[128:131], a[142:143], v[238:239], v[128:131]// 000000007CF8: D3D70080 0E03DD8E
	v_mfma_i32_16x16x32_i8 v[132:135], a[128:129], v[240:241], v[132:135]// 000000007D00: D3D70084 0E13E180
	buffer_load_dwordx4 a[8:11], v34, s[24:27], 0 offen offset:2048// 000000007D08: E05C1800 80860822
	v_mfma_i32_16x16x32_i8 v[132:135], a[130:131], v[242:243], v[132:135]// 000000007D10: D3D70084 0E13E582
	v_mfma_i32_16x16x32_i8 v[132:135], a[132:133], v[244:245], v[132:135]// 000000007D18: D3D70084 0E13E984
	buffer_load_dword v28, s[20:23], 0 offen lds               // 000000007D20: E0511000 8005001C
	s_add_u32 m0, 0x300, s51                                   // 000000007D28: 807C33FF 00000300
	v_mfma_i32_16x16x32_i8 v[132:135], a[134:135], v[246:247], v[132:135]// 000000007D30: D3D70084 0E13ED86
	v_mfma_i32_16x16x32_i8 v[132:135], a[136:137], v[248:249], v[132:135]// 000000007D38: D3D70084 0E13F188
	buffer_load_dwordx4 a[12:15], v34, s[24:27], 0 offen offset:3072// 000000007D40: E05C1C00 80860C22
	v_mfma_i32_16x16x32_i8 v[132:135], a[138:139], v[250:251], v[132:135]// 000000007D48: D3D70084 0E13F58A
	v_mfma_i32_16x16x32_i8 v[132:135], a[140:141], v[252:253], v[132:135]// 000000007D50: D3D70084 0E13F98C
	buffer_load_dword v29, s[20:23], 0 offen lds               // 000000007D58: E0511000 8005001D
	s_add_u32 m0, 0x400, s51                                   // 000000007D60: 807C33FF 00000400
	v_mfma_i32_16x16x32_i8 v[132:135], a[142:143], v[254:255], v[132:135]// 000000007D68: D3D70084 0E13FD8E
	v_mfma_i32_16x16x32_i8 v[136:139], a[144:145], v[224:225], v[136:139]// 000000007D70: D3D70088 0E23C190
	buffer_load_dwordx4 a[16:19], v35, s[24:27], 0 offen       // 000000007D78: E05C1000 80861023
	v_mfma_i32_16x16x32_i8 v[136:139], a[146:147], v[226:227], v[136:139]// 000000007D80: D3D70088 0E23C592
	v_mfma_i32_16x16x32_i8 v[136:139], a[148:149], v[228:229], v[136:139]// 000000007D88: D3D70088 0E23C994
	buffer_load_dword v30, s[20:23], 0 offen lds               // 000000007D90: E0511000 8005001E
	s_add_u32 m0, 0x500, s51                                   // 000000007D98: 807C33FF 00000500
	v_mfma_i32_16x16x32_i8 v[136:139], a[150:151], v[230:231], v[136:139]// 000000007DA0: D3D70088 0E23CD96
	v_mfma_i32_16x16x32_i8 v[136:139], a[152:153], v[232:233], v[136:139]// 000000007DA8: D3D70088 0E23D198
	buffer_load_dwordx4 a[20:23], v35, s[24:27], 0 offen offset:1024// 000000007DB0: E05C1400 80861423
	v_mfma_i32_16x16x32_i8 v[136:139], a[154:155], v[234:235], v[136:139]// 000000007DB8: D3D70088 0E23D59A
	v_mfma_i32_16x16x32_i8 v[136:139], a[156:157], v[236:237], v[136:139]// 000000007DC0: D3D70088 0E23D99C
	buffer_load_dword v31, s[20:23], 0 offen lds               // 000000007DC8: E0511000 8005001F
	s_add_u32 m0, 0x600, s51                                   // 000000007DD0: 807C33FF 00000600
	v_mfma_i32_16x16x32_i8 v[136:139], a[158:159], v[238:239], v[136:139]// 000000007DD8: D3D70088 0E23DD9E
	v_mfma_i32_16x16x32_i8 v[140:143], a[144:145], v[240:241], v[140:143]// 000000007DE0: D3D7008C 0E33E190
	buffer_load_dwordx4 a[24:27], v35, s[24:27], 0 offen offset:2048// 000000007DE8: E05C1800 80861823
	v_mfma_i32_16x16x32_i8 v[140:143], a[146:147], v[242:243], v[140:143]// 000000007DF0: D3D7008C 0E33E592
	v_mfma_i32_16x16x32_i8 v[140:143], a[148:149], v[244:245], v[140:143]// 000000007DF8: D3D7008C 0E33E994
	buffer_load_dword v32, s[20:23], 0 offen lds               // 000000007E00: E0511000 80050020
	s_add_u32 m0, 0x700, s51                                   // 000000007E08: 807C33FF 00000700
	v_mfma_i32_16x16x32_i8 v[140:143], a[150:151], v[246:247], v[140:143]// 000000007E10: D3D7008C 0E33ED96
	v_mfma_i32_16x16x32_i8 v[140:143], a[152:153], v[248:249], v[140:143]// 000000007E18: D3D7008C 0E33F198
	buffer_load_dwordx4 a[28:31], v35, s[24:27], 0 offen offset:3072// 000000007E20: E05C1C00 80861C23
	v_mfma_i32_16x16x32_i8 v[140:143], a[154:155], v[250:251], v[140:143]// 000000007E28: D3D7008C 0E33F59A
	v_mfma_i32_16x16x32_i8 v[140:143], a[156:157], v[252:253], v[140:143]// 000000007E30: D3D7008C 0E33F99C
	buffer_load_dword v33, s[20:23], 0 offen lds               // 000000007E38: E0511000 80050021
	s_add_u32 m0, 0, s50                                       // 000000007E40: 807C3280
	v_mfma_i32_16x16x32_i8 v[140:143], a[158:159], v[254:255], v[140:143]// 000000007E44: D3D7008C 0E33FD9E
	s_waitcnt vmcnt(32)                                        // 000000007E4C: BF8C8F70
	v_mfma_i32_16x16x32_i8 v[144:147], a[160:161], v[224:225], v[144:147]// 000000007E50: D3D70090 0E43C1A0
	buffer_load_dwordx4 a[32:35], v36, s[24:27], 0 offen       // 000000007E58: E05C1000 80862024
	v_mfma_i32_16x16x32_i8 v[144:147], a[162:163], v[226:227], v[144:147]// 000000007E60: D3D70090 0E43C5A2
	v_mfma_i32_16x16x32_i8 v[144:147], a[164:165], v[228:229], v[144:147]// 000000007E68: D3D70090 0E43C9A4
	ds_read_b128 v[192:195], v2                                // 000000007E70: D9FE0000 C0000002
	v_mfma_i32_16x16x32_i8 v[144:147], a[166:167], v[230:231], v[144:147]// 000000007E78: D3D70090 0E43CDA6
	v_mfma_i32_16x16x32_i8 v[144:147], a[168:169], v[232:233], v[144:147]// 000000007E80: D3D70090 0E43D1A8
	buffer_load_dwordx4 a[36:39], v36, s[24:27], 0 offen offset:1024// 000000007E88: E05C1400 80862424
	v_mfma_i32_16x16x32_i8 v[144:147], a[170:171], v[234:235], v[144:147]// 000000007E90: D3D70090 0E43D5AA
	v_mfma_i32_16x16x32_i8 v[144:147], a[172:173], v[236:237], v[144:147]// 000000007E98: D3D70090 0E43D9AC
	ds_read_b128 v[196:199], v2 offset:64                      // 000000007EA0: D9FE0040 C4000002
	v_mfma_i32_16x16x32_i8 v[144:147], a[174:175], v[238:239], v[144:147]// 000000007EA8: D3D70090 0E43DDAE
	v_mfma_i32_16x16x32_i8 v[148:151], a[160:161], v[240:241], v[148:151]// 000000007EB0: D3D70094 0E53E1A0
	buffer_load_dwordx4 a[40:43], v36, s[24:27], 0 offen offset:2048// 000000007EB8: E05C1800 80862824
	v_mfma_i32_16x16x32_i8 v[148:151], a[162:163], v[242:243], v[148:151]// 000000007EC0: D3D70094 0E53E5A2
	v_mfma_i32_16x16x32_i8 v[148:151], a[164:165], v[244:245], v[148:151]// 000000007EC8: D3D70094 0E53E9A4
	ds_read_b128 v[200:203], v2 offset:128                     // 000000007ED0: D9FE0080 C8000002
	v_mfma_i32_16x16x32_i8 v[148:151], a[166:167], v[246:247], v[148:151]// 000000007ED8: D3D70094 0E53EDA6
	v_mfma_i32_16x16x32_i8 v[148:151], a[168:169], v[248:249], v[148:151]// 000000007EE0: D3D70094 0E53F1A8
	buffer_load_dwordx4 a[44:47], v36, s[24:27], 0 offen offset:3072// 000000007EE8: E05C1C00 80862C24
	v_mfma_i32_16x16x32_i8 v[148:151], a[170:171], v[250:251], v[148:151]// 000000007EF0: D3D70094 0E53F5AA
	v_mfma_i32_16x16x32_i8 v[148:151], a[172:173], v[252:253], v[148:151]// 000000007EF8: D3D70094 0E53F9AC
	ds_read_b128 v[204:207], v2 offset:192                     // 000000007F00: D9FE00C0 CC000002
	v_mfma_i32_16x16x32_i8 v[148:151], a[174:175], v[254:255], v[148:151]// 000000007F08: D3D70094 0E53FDAE
	v_mfma_i32_16x16x32_i8 v[152:155], a[176:177], v[224:225], v[152:155]// 000000007F10: D3D70098 0E63C1B0
	buffer_load_dwordx4 a[48:51], v37, s[24:27], 0 offen       // 000000007F18: E05C1000 80863025
	v_mfma_i32_16x16x32_i8 v[152:155], a[178:179], v[226:227], v[152:155]// 000000007F20: D3D70098 0E63C5B2
	v_mfma_i32_16x16x32_i8 v[152:155], a[180:181], v[228:229], v[152:155]// 000000007F28: D3D70098 0E63C9B4
	ds_read_b128 v[208:211], v2 offset:1024                    // 000000007F30: D9FE0400 D0000002
	v_mfma_i32_16x16x32_i8 v[152:155], a[182:183], v[230:231], v[152:155]// 000000007F38: D3D70098 0E63CDB6
	v_mfma_i32_16x16x32_i8 v[152:155], a[184:185], v[232:233], v[152:155]// 000000007F40: D3D70098 0E63D1B8
	buffer_load_dwordx4 a[52:55], v37, s[24:27], 0 offen offset:1024// 000000007F48: E05C1400 80863425
	v_mfma_i32_16x16x32_i8 v[152:155], a[186:187], v[234:235], v[152:155]// 000000007F50: D3D70098 0E63D5BA
	v_mfma_i32_16x16x32_i8 v[152:155], a[188:189], v[236:237], v[152:155]// 000000007F58: D3D70098 0E63D9BC
	ds_read_b128 v[212:215], v2 offset:1088                    // 000000007F60: D9FE0440 D4000002
	v_mfma_i32_16x16x32_i8 v[152:155], a[190:191], v[238:239], v[152:155]// 000000007F68: D3D70098 0E63DDBE
	v_mfma_i32_16x16x32_i8 v[156:159], a[176:177], v[240:241], v[156:159]// 000000007F70: D3D7009C 0E73E1B0
	buffer_load_dwordx4 a[56:59], v37, s[24:27], 0 offen offset:2048// 000000007F78: E05C1800 80863825
	v_mfma_i32_16x16x32_i8 v[156:159], a[178:179], v[242:243], v[156:159]// 000000007F80: D3D7009C 0E73E5B2
	v_mfma_i32_16x16x32_i8 v[156:159], a[180:181], v[244:245], v[156:159]// 000000007F88: D3D7009C 0E73E9B4
	ds_read_b128 v[216:219], v2 offset:1152                    // 000000007F90: D9FE0480 D8000002
	v_mfma_i32_16x16x32_i8 v[156:159], a[182:183], v[246:247], v[156:159]// 000000007F98: D3D7009C 0E73EDB6
	v_mfma_i32_16x16x32_i8 v[156:159], a[184:185], v[248:249], v[156:159]// 000000007FA0: D3D7009C 0E73F1B8
	buffer_load_dwordx4 a[60:63], v37, s[24:27], 0 offen offset:3072// 000000007FA8: E05C1C00 80863C25
	v_mfma_i32_16x16x32_i8 v[156:159], a[186:187], v[250:251], v[156:159]// 000000007FB0: D3D7009C 0E73F5BA
	v_mfma_i32_16x16x32_i8 v[156:159], a[188:189], v[252:253], v[156:159]// 000000007FB8: D3D7009C 0E73F9BC
	ds_read_b128 v[220:223], v2 offset:1216                    // 000000007FC0: D9FE04C0 DC000002
	v_mfma_i32_16x16x32_i8 v[156:159], a[190:191], v[254:255], v[156:159]// 000000007FC8: D3D7009C 0E73FDBE
	s_waitcnt vmcnt(32)                                        // 000000007FD0: BF8C8F70
	v_mfma_i32_16x16x32_i8 v[160:163], a[192:193], v[224:225], v[160:163]// 000000007FD4: D3D700A0 0E83C1C0
	buffer_load_dwordx4 a[64:67], v38, s[24:27], 0 offen       // 000000007FDC: E05C1000 80864026
	v_mfma_i32_16x16x32_i8 v[160:163], a[194:195], v[226:227], v[160:163]// 000000007FE4: D3D700A0 0E83C5C2
	v_mfma_i32_16x16x32_i8 v[160:163], a[196:197], v[228:229], v[160:163]// 000000007FEC: D3D700A0 0E83C9C4
	s_add_u32 s60, 0x300, s80                                  // 000000007FF4: 803C50FF 00000300
	s_cmp_lt_u32 s60, s81                                      // 000000007FFC: BF0A513C
	s_cselect_b32 s57, s57, 0                                  // 000000008000: 85398039
	v_mfma_i32_16x16x32_i8 v[160:163], a[198:199], v[230:231], v[160:163]// 000000008004: D3D700A0 0E83CDC6
	v_mfma_i32_16x16x32_i8 v[160:163], a[200:201], v[232:233], v[160:163]// 00000000800C: D3D700A0 0E83D1C8
	buffer_load_dwordx4 a[68:71], v38, s[24:27], 0 offen offset:1024// 000000008014: E05C1400 80864426
	v_mfma_i32_16x16x32_i8 v[160:163], a[202:203], v[234:235], v[160:163]// 00000000801C: D3D700A0 0E83D5CA
	v_mfma_i32_16x16x32_i8 v[160:163], a[204:205], v[236:237], v[160:163]// 000000008024: D3D700A0 0E83D9CC
	s_add_u32 s60, 0x200, s80                                  // 00000000802C: 803C50FF 00000200
	s_cmp_lt_u32 s60, s81                                      // 000000008034: BF0A513C
	s_cselect_b32 s58, s58, 0                                  // 000000008038: 853A803A
	v_mfma_i32_16x16x32_i8 v[160:163], a[206:207], v[238:239], v[160:163]// 00000000803C: D3D700A0 0E83DDCE
	v_mfma_i32_16x16x32_i8 v[164:167], a[192:193], v[240:241], v[164:167]// 000000008044: D3D700A4 0E93E1C0
	buffer_load_dwordx4 a[72:75], v38, s[24:27], 0 offen offset:2048// 00000000804C: E05C1800 80864826
	v_mfma_i32_16x16x32_i8 v[164:167], a[194:195], v[242:243], v[164:167]// 000000008054: D3D700A4 0E93E5C2
	v_mfma_i32_16x16x32_i8 v[164:167], a[196:197], v[244:245], v[164:167]// 00000000805C: D3D700A4 0E93E9C4
	s_add_u32 s20, s57, s20                                    // 000000008064: 80141439
	s_addc_u32 s21, 0, s21                                     // 000000008068: 82151580
	v_mfma_i32_16x16x32_i8 v[164:167], a[198:199], v[246:247], v[164:167]// 00000000806C: D3D700A4 0E93EDC6
	v_mfma_i32_16x16x32_i8 v[164:167], a[200:201], v[248:249], v[164:167]// 000000008074: D3D700A4 0E93F1C8
	buffer_load_dwordx4 a[76:79], v38, s[24:27], 0 offen offset:3072// 00000000807C: E05C1C00 80864C26
	v_mfma_i32_16x16x32_i8 v[164:167], a[202:203], v[250:251], v[164:167]// 000000008084: D3D700A4 0E93F5CA
	v_mfma_i32_16x16x32_i8 v[164:167], a[204:205], v[252:253], v[164:167]// 00000000808C: D3D700A4 0E93F9CC
	v_mfma_i32_16x16x32_i8 v[164:167], a[206:207], v[254:255], v[164:167]// 000000008094: D3D700A4 0E93FDCE
	v_mfma_i32_16x16x32_i8 v[168:171], a[208:209], v[224:225], v[168:171]// 00000000809C: D3D700A8 0EA3C1D0
	buffer_load_dwordx4 a[80:83], v39, s[24:27], 0 offen       // 0000000080A4: E05C1000 80865027
	v_mfma_i32_16x16x32_i8 v[168:171], a[210:211], v[226:227], v[168:171]// 0000000080AC: D3D700A8 0EA3C5D2
	v_mfma_i32_16x16x32_i8 v[168:171], a[212:213], v[228:229], v[168:171]// 0000000080B4: D3D700A8 0EA3C9D4
	v_mfma_i32_16x16x32_i8 v[168:171], a[214:215], v[230:231], v[168:171]// 0000000080BC: D3D700A8 0EA3CDD6
	v_mfma_i32_16x16x32_i8 v[168:171], a[216:217], v[232:233], v[168:171]// 0000000080C4: D3D700A8 0EA3D1D8
	buffer_load_dwordx4 a[84:87], v39, s[24:27], 0 offen offset:1024// 0000000080CC: E05C1400 80865427
	v_mfma_i32_16x16x32_i8 v[168:171], a[218:219], v[234:235], v[168:171]// 0000000080D4: D3D700A8 0EA3D5DA
	v_mfma_i32_16x16x32_i8 v[168:171], a[220:221], v[236:237], v[168:171]// 0000000080DC: D3D700A8 0EA3D9DC
	v_mfma_i32_16x16x32_i8 v[168:171], a[222:223], v[238:239], v[168:171]// 0000000080E4: D3D700A8 0EA3DDDE
	v_mfma_i32_16x16x32_i8 v[172:175], a[208:209], v[240:241], v[172:175]// 0000000080EC: D3D700AC 0EB3E1D0
	buffer_load_dwordx4 a[88:91], v39, s[24:27], 0 offen offset:2048// 0000000080F4: E05C1800 80865827
	v_mfma_i32_16x16x32_i8 v[172:175], a[210:211], v[242:243], v[172:175]// 0000000080FC: D3D700AC 0EB3E5D2
	v_mfma_i32_16x16x32_i8 v[172:175], a[212:213], v[244:245], v[172:175]// 000000008104: D3D700AC 0EB3E9D4
	v_mfma_i32_16x16x32_i8 v[172:175], a[214:215], v[246:247], v[172:175]// 00000000810C: D3D700AC 0EB3EDD6
	v_mfma_i32_16x16x32_i8 v[172:175], a[216:217], v[248:249], v[172:175]// 000000008114: D3D700AC 0EB3F1D8
	buffer_load_dwordx4 a[92:95], v39, s[24:27], 0 offen offset:3072// 00000000811C: E05C1C00 80865C27
	v_mfma_i32_16x16x32_i8 v[172:175], a[218:219], v[250:251], v[172:175]// 000000008124: D3D700AC 0EB3F5DA
	v_mfma_i32_16x16x32_i8 v[172:175], a[220:221], v[252:253], v[172:175]// 00000000812C: D3D700AC 0EB3F9DC
	v_mfma_i32_16x16x32_i8 v[172:175], a[222:223], v[254:255], v[172:175]// 000000008134: D3D700AC 0EB3FDDE
	s_waitcnt vmcnt(32)                                        // 00000000813C: BF8C8F70
	v_mfma_i32_16x16x32_i8 v[176:179], a[224:225], v[224:225], v[176:179]// 000000008140: D3D700B0 0EC3C1E0
	buffer_load_dwordx4 a[96:99], v40, s[24:27], 0 offen       // 000000008148: E05C1000 80866028
	v_mfma_i32_16x16x32_i8 v[176:179], a[226:227], v[226:227], v[176:179]// 000000008150: D3D700B0 0EC3C5E2
	v_mfma_i32_16x16x32_i8 v[176:179], a[228:229], v[228:229], v[176:179]// 000000008158: D3D700B0 0EC3C9E4
	v_mfma_i32_16x16x32_i8 v[176:179], a[230:231], v[230:231], v[176:179]// 000000008160: D3D700B0 0EC3CDE6
	v_mfma_i32_16x16x32_i8 v[176:179], a[232:233], v[232:233], v[176:179]// 000000008168: D3D700B0 0EC3D1E8
	buffer_load_dwordx4 a[100:103], v40, s[24:27], 0 offen offset:1024// 000000008170: E05C1400 80866428
	v_mfma_i32_16x16x32_i8 v[176:179], a[234:235], v[234:235], v[176:179]// 000000008178: D3D700B0 0EC3D5EA
	v_mfma_i32_16x16x32_i8 v[176:179], a[236:237], v[236:237], v[176:179]// 000000008180: D3D700B0 0EC3D9EC
	v_mfma_i32_16x16x32_i8 v[176:179], a[238:239], v[238:239], v[176:179]// 000000008188: D3D700B0 0EC3DDEE
	v_mfma_i32_16x16x32_i8 v[180:183], a[224:225], v[240:241], v[180:183]// 000000008190: D3D700B4 0ED3E1E0
	buffer_load_dwordx4 a[104:107], v40, s[24:27], 0 offen offset:2048// 000000008198: E05C1800 80866828
	v_mfma_i32_16x16x32_i8 v[180:183], a[226:227], v[242:243], v[180:183]// 0000000081A0: D3D700B4 0ED3E5E2
	v_mfma_i32_16x16x32_i8 v[180:183], a[228:229], v[244:245], v[180:183]// 0000000081A8: D3D700B4 0ED3E9E4
	v_mfma_i32_16x16x32_i8 v[180:183], a[230:231], v[246:247], v[180:183]// 0000000081B0: D3D700B4 0ED3EDE6
	v_mfma_i32_16x16x32_i8 v[180:183], a[232:233], v[248:249], v[180:183]// 0000000081B8: D3D700B4 0ED3F1E8
	buffer_load_dwordx4 a[108:111], v40, s[24:27], 0 offen offset:3072// 0000000081C0: E05C1C00 80866C28
	v_mfma_i32_16x16x32_i8 v[180:183], a[234:235], v[250:251], v[180:183]// 0000000081C8: D3D700B4 0ED3F5EA
	v_mfma_i32_16x16x32_i8 v[180:183], a[236:237], v[252:253], v[180:183]// 0000000081D0: D3D700B4 0ED3F9EC
	v_mfma_i32_16x16x32_i8 v[180:183], a[238:239], v[254:255], v[180:183]// 0000000081D8: D3D700B4 0ED3FDEE
	v_mfma_i32_16x16x32_i8 v[184:187], a[240:241], v[224:225], v[184:187]// 0000000081E0: D3D700B8 0EE3C1F0
	buffer_load_dwordx4 a[112:115], v41, s[24:27], 0 offen     // 0000000081E8: E05C1000 80867029
	v_mfma_i32_16x16x32_i8 v[184:187], a[242:243], v[226:227], v[184:187]// 0000000081F0: D3D700B8 0EE3C5F2
	v_mfma_i32_16x16x32_i8 v[184:187], a[244:245], v[228:229], v[184:187]// 0000000081F8: D3D700B8 0EE3C9F4
	v_mfma_i32_16x16x32_i8 v[184:187], a[246:247], v[230:231], v[184:187]// 000000008200: D3D700B8 0EE3CDF6
	v_mfma_i32_16x16x32_i8 v[184:187], a[248:249], v[232:233], v[184:187]// 000000008208: D3D700B8 0EE3D1F8
	buffer_load_dwordx4 a[116:119], v41, s[24:27], 0 offen offset:1024// 000000008210: E05C1400 80867429
	v_mfma_i32_16x16x32_i8 v[184:187], a[250:251], v[234:235], v[184:187]// 000000008218: D3D700B8 0EE3D5FA
	v_mfma_i32_16x16x32_i8 v[184:187], a[252:253], v[236:237], v[184:187]// 000000008220: D3D700B8 0EE3D9FC
	v_mfma_i32_16x16x32_i8 v[184:187], a[254:255], v[238:239], v[184:187]// 000000008228: D3D700B8 0EE3DDFE
	v_mfma_i32_16x16x32_i8 v[188:191], a[240:241], v[240:241], v[188:191]// 000000008230: D3D700BC 0EF3E1F0
	buffer_load_dwordx4 a[120:123], v41, s[24:27], 0 offen offset:2048// 000000008238: E05C1800 80867829
	v_mfma_i32_16x16x32_i8 v[188:191], a[242:243], v[242:243], v[188:191]// 000000008240: D3D700BC 0EF3E5F2
	v_mfma_i32_16x16x32_i8 v[188:191], a[244:245], v[244:245], v[188:191]// 000000008248: D3D700BC 0EF3E9F4
	v_mfma_i32_16x16x32_i8 v[188:191], a[246:247], v[246:247], v[188:191]// 000000008250: D3D700BC 0EF3EDF6
	v_mfma_i32_16x16x32_i8 v[188:191], a[248:249], v[248:249], v[188:191]// 000000008258: D3D700BC 0EF3F1F8
	buffer_load_dwordx4 a[124:127], v41, s[24:27], 0 offen offset:3072// 000000008260: E05C1C00 80867C29
	v_mfma_i32_16x16x32_i8 v[188:191], a[250:251], v[250:251], v[188:191]// 000000008268: D3D700BC 0EF3F5FA
	v_mfma_i32_16x16x32_i8 v[188:191], a[252:253], v[252:253], v[188:191]// 000000008270: D3D700BC 0EF3F9FC
	s_add_u32 s24, s58, s24                                    // 000000008278: 8018183A
	s_addc_u32 s25, 0, s25                                     // 00000000827C: 82191980
	v_mfma_i32_16x16x32_i8 v[188:191], a[254:255], v[254:255], v[188:191]// 000000008280: D3D700BC 0EF3FDFE
	s_addk_i32 s80, 0x100                                      // 000000008288: B7500100
	s_cmp_lt_i32 s80, s81                                      // 00000000828C: BF045150
	s_cbranch_scc0 label_1526                                  // 000000008290: BF840001
	s_branch label_121F                                        // 000000008294: BF82FCF9

0000000000008298 <label_1526>:
	s_mov_b32 s20, 0                                           // 000000008298: BE940080
	s_cmp_lt_u32 s91, s66                                      // 00000000829C: BF0A425B
	s_cselect_b32 s60, 0, 1                                    // 0000000082A0: 853C8180
	s_lshl1_add_u32 s20, s20, s60                              // 0000000082A4: 97143C14
	s_cmp_lt_u32 s90, s66                                      // 0000000082A8: BF0A425A
	s_cselect_b32 s60, 0, 1                                    // 0000000082AC: 853C8180
	s_lshl1_add_u32 s20, s20, s60                              // 0000000082B0: 97143C14
	s_cmp_lt_u32 s89, s66                                      // 0000000082B4: BF0A4259
	s_cselect_b32 s60, 0, 1                                    // 0000000082B8: 853C8180
	s_lshl1_add_u32 s20, s20, s60                              // 0000000082BC: 97143C14
	s_cmp_lt_u32 s88, s66                                      // 0000000082C0: BF0A4258
	s_cselect_b32 s60, 0, 1                                    // 0000000082C4: 853C8180
	s_lshl1_add_u32 s20, s20, s60                              // 0000000082C8: 97143C14
	s_cmp_lt_u32 s87, s66                                      // 0000000082CC: BF0A4257
	s_cselect_b32 s60, 0, 1                                    // 0000000082D0: 853C8180
	s_lshl1_add_u32 s20, s20, s60                              // 0000000082D4: 97143C14
	s_cmp_lt_u32 s86, s66                                      // 0000000082D8: BF0A4256
	s_cselect_b32 s60, 0, 1                                    // 0000000082DC: 853C8180
	s_lshl1_add_u32 s20, s20, s60                              // 0000000082E0: 97143C14
	s_cmp_lt_u32 s85, s66                                      // 0000000082E4: BF0A4255
	s_cselect_b32 s60, 0, 1                                    // 0000000082E8: 853C8180
	s_lshl1_add_u32 s20, s20, s60                              // 0000000082EC: 97143C14
	s_cmp_lt_u32 s84, s66                                      // 0000000082F0: BF0A4254
	s_cselect_b32 s60, 0, 1                                    // 0000000082F4: 853C8180
	s_lshl1_add_u32 s20, s20, s60                              // 0000000082F8: 97143C14
	v_cvt_f32_i32_e32 v128, v128                               // 0000000082FC: 7F000B80
	v_cvt_f32_i32_e32 v129, v129                               // 000000008300: 7F020B81
	v_cvt_f32_i32_e32 v130, v130                               // 000000008304: 7F040B82
	v_cvt_f32_i32_e32 v131, v131                               // 000000008308: 7F060B83
	v_mul_f32_e32 v128, v14, v128                              // 00000000830C: 0B01010E
	v_mul_f32_e32 v129, v14, v129                              // 000000008310: 0B03030E
	v_mul_f32_e32 v130, v14, v130                              // 000000008314: 0B05050E
	v_mul_f32_e32 v131, v14, v131                              // 000000008318: 0B07070E
	v_mul_f32_dpp v128, v16, v128 row_newbcast:0 row_mask:0xf bank_mask:0xf// 00000000831C: 0B0100FA FF015010
	v_mul_f32_dpp v129, v16, v129 row_newbcast:1 row_mask:0xf bank_mask:0xf// 000000008324: 0B0302FA FF015110
	v_mul_f32_dpp v130, v16, v130 row_newbcast:2 row_mask:0xf bank_mask:0xf// 00000000832C: 0B0504FA FF015210
	v_mul_f32_dpp v131, v16, v131 row_newbcast:3 row_mask:0xf bank_mask:0xf// 000000008334: 0B0706FA FF015310
	v_cvt_f32_i32_e32 v132, v132                               // 00000000833C: 7F080B84
	v_cvt_f32_i32_e32 v133, v133                               // 000000008340: 7F0A0B85
	v_cvt_f32_i32_e32 v134, v134                               // 000000008344: 7F0C0B86
	v_cvt_f32_i32_e32 v135, v135                               // 000000008348: 7F0E0B87
	v_mul_f32_e32 v132, v15, v132                              // 00000000834C: 0B09090F
	v_mul_f32_e32 v133, v15, v133                              // 000000008350: 0B0B0B0F
	v_mul_f32_e32 v134, v15, v134                              // 000000008354: 0B0D0D0F
	v_mul_f32_e32 v135, v15, v135                              // 000000008358: 0B0F0F0F
	v_mul_f32_dpp v132, v16, v132 row_newbcast:0 row_mask:0xf bank_mask:0xf// 00000000835C: 0B0908FA FF015010
	v_mul_f32_dpp v133, v16, v133 row_newbcast:1 row_mask:0xf bank_mask:0xf// 000000008364: 0B0B0AFA FF015110
	v_mul_f32_dpp v134, v16, v134 row_newbcast:2 row_mask:0xf bank_mask:0xf// 00000000836C: 0B0D0CFA FF015210
	v_mul_f32_dpp v135, v16, v135 row_newbcast:3 row_mask:0xf bank_mask:0xf// 000000008374: 0B0F0EFA FF015310
	v_cvt_f32_i32_e32 v136, v136                               // 00000000837C: 7F100B88
	v_cvt_f32_i32_e32 v137, v137                               // 000000008380: 7F120B89
	v_cvt_f32_i32_e32 v138, v138                               // 000000008384: 7F140B8A
	v_cvt_f32_i32_e32 v139, v139                               // 000000008388: 7F160B8B
	v_mul_f32_e32 v136, v14, v136                              // 00000000838C: 0B11110E
	v_mul_f32_e32 v137, v14, v137                              // 000000008390: 0B13130E
	v_mul_f32_e32 v138, v14, v138                              // 000000008394: 0B15150E
	v_mul_f32_e32 v139, v14, v139                              // 000000008398: 0B17170E
	v_mul_f32_dpp v136, v16, v136 row_newbcast:4 row_mask:0xf bank_mask:0xf// 00000000839C: 0B1110FA FF015410
	v_mul_f32_dpp v137, v16, v137 row_newbcast:5 row_mask:0xf bank_mask:0xf// 0000000083A4: 0B1312FA FF015510
	v_mul_f32_dpp v138, v16, v138 row_newbcast:6 row_mask:0xf bank_mask:0xf// 0000000083AC: 0B1514FA FF015610
	v_mul_f32_dpp v139, v16, v139 row_newbcast:7 row_mask:0xf bank_mask:0xf// 0000000083B4: 0B1716FA FF015710
	v_cvt_f32_i32_e32 v140, v140                               // 0000000083BC: 7F180B8C
	v_cvt_f32_i32_e32 v141, v141                               // 0000000083C0: 7F1A0B8D
	v_cvt_f32_i32_e32 v142, v142                               // 0000000083C4: 7F1C0B8E
	v_cvt_f32_i32_e32 v143, v143                               // 0000000083C8: 7F1E0B8F
	v_mul_f32_e32 v140, v15, v140                              // 0000000083CC: 0B19190F
	v_mul_f32_e32 v141, v15, v141                              // 0000000083D0: 0B1B1B0F
	v_mul_f32_e32 v142, v15, v142                              // 0000000083D4: 0B1D1D0F
	v_mul_f32_e32 v143, v15, v143                              // 0000000083D8: 0B1F1F0F
	v_mul_f32_dpp v140, v16, v140 row_newbcast:4 row_mask:0xf bank_mask:0xf// 0000000083DC: 0B1918FA FF015410
	v_mul_f32_dpp v141, v16, v141 row_newbcast:5 row_mask:0xf bank_mask:0xf// 0000000083E4: 0B1B1AFA FF015510
	v_mul_f32_dpp v142, v16, v142 row_newbcast:6 row_mask:0xf bank_mask:0xf// 0000000083EC: 0B1D1CFA FF015610
	v_mul_f32_dpp v143, v16, v143 row_newbcast:7 row_mask:0xf bank_mask:0xf// 0000000083F4: 0B1F1EFA FF015710
	v_cvt_f32_i32_e32 v144, v144                               // 0000000083FC: 7F200B90
	v_cvt_f32_i32_e32 v145, v145                               // 000000008400: 7F220B91
	v_cvt_f32_i32_e32 v146, v146                               // 000000008404: 7F240B92
	v_cvt_f32_i32_e32 v147, v147                               // 000000008408: 7F260B93
	v_mul_f32_e32 v144, v14, v144                              // 00000000840C: 0B21210E
	v_mul_f32_e32 v145, v14, v145                              // 000000008410: 0B23230E
	v_mul_f32_e32 v146, v14, v146                              // 000000008414: 0B25250E
	v_mul_f32_e32 v147, v14, v147                              // 000000008418: 0B27270E
	v_mul_f32_dpp v144, v16, v144 row_newbcast:8 row_mask:0xf bank_mask:0xf// 00000000841C: 0B2120FA FF015810
	v_mul_f32_dpp v145, v16, v145 row_newbcast:9 row_mask:0xf bank_mask:0xf// 000000008424: 0B2322FA FF015910
	v_mul_f32_dpp v146, v16, v146 row_newbcast:10 row_mask:0xf bank_mask:0xf// 00000000842C: 0B2524FA FF015A10
	v_mul_f32_dpp v147, v16, v147 row_newbcast:11 row_mask:0xf bank_mask:0xf// 000000008434: 0B2726FA FF015B10
	v_cvt_f32_i32_e32 v148, v148                               // 00000000843C: 7F280B94
	v_cvt_f32_i32_e32 v149, v149                               // 000000008440: 7F2A0B95
	v_cvt_f32_i32_e32 v150, v150                               // 000000008444: 7F2C0B96
	v_cvt_f32_i32_e32 v151, v151                               // 000000008448: 7F2E0B97
	v_mul_f32_e32 v148, v15, v148                              // 00000000844C: 0B29290F
	v_mul_f32_e32 v149, v15, v149                              // 000000008450: 0B2B2B0F
	v_mul_f32_e32 v150, v15, v150                              // 000000008454: 0B2D2D0F
	v_mul_f32_e32 v151, v15, v151                              // 000000008458: 0B2F2F0F
	v_mul_f32_dpp v148, v16, v148 row_newbcast:8 row_mask:0xf bank_mask:0xf// 00000000845C: 0B2928FA FF015810
	v_mul_f32_dpp v149, v16, v149 row_newbcast:9 row_mask:0xf bank_mask:0xf// 000000008464: 0B2B2AFA FF015910
	v_mul_f32_dpp v150, v16, v150 row_newbcast:10 row_mask:0xf bank_mask:0xf// 00000000846C: 0B2D2CFA FF015A10
	v_mul_f32_dpp v151, v16, v151 row_newbcast:11 row_mask:0xf bank_mask:0xf// 000000008474: 0B2F2EFA FF015B10
	v_cvt_f32_i32_e32 v152, v152                               // 00000000847C: 7F300B98
	v_cvt_f32_i32_e32 v153, v153                               // 000000008480: 7F320B99
	v_cvt_f32_i32_e32 v154, v154                               // 000000008484: 7F340B9A
	v_cvt_f32_i32_e32 v155, v155                               // 000000008488: 7F360B9B
	v_mul_f32_e32 v152, v14, v152                              // 00000000848C: 0B31310E
	v_mul_f32_e32 v153, v14, v153                              // 000000008490: 0B33330E
	v_mul_f32_e32 v154, v14, v154                              // 000000008494: 0B35350E
	v_mul_f32_e32 v155, v14, v155                              // 000000008498: 0B37370E
	v_mul_f32_dpp v152, v16, v152 row_newbcast:12 row_mask:0xf bank_mask:0xf// 00000000849C: 0B3130FA FF015C10
	v_mul_f32_dpp v153, v16, v153 row_newbcast:13 row_mask:0xf bank_mask:0xf// 0000000084A4: 0B3332FA FF015D10
	v_mul_f32_dpp v154, v16, v154 row_newbcast:14 row_mask:0xf bank_mask:0xf// 0000000084AC: 0B3534FA FF015E10
	v_mul_f32_dpp v155, v16, v155 row_newbcast:15 row_mask:0xf bank_mask:0xf// 0000000084B4: 0B3736FA FF015F10
	v_cvt_f32_i32_e32 v156, v156                               // 0000000084BC: 7F380B9C
	v_cvt_f32_i32_e32 v157, v157                               // 0000000084C0: 7F3A0B9D
	v_cvt_f32_i32_e32 v158, v158                               // 0000000084C4: 7F3C0B9E
	v_cvt_f32_i32_e32 v159, v159                               // 0000000084C8: 7F3E0B9F
	v_mul_f32_e32 v156, v15, v156                              // 0000000084CC: 0B39390F
	v_mul_f32_e32 v157, v15, v157                              // 0000000084D0: 0B3B3B0F
	v_mul_f32_e32 v158, v15, v158                              // 0000000084D4: 0B3D3D0F
	v_mul_f32_e32 v159, v15, v159                              // 0000000084D8: 0B3F3F0F
	v_mul_f32_dpp v156, v16, v156 row_newbcast:12 row_mask:0xf bank_mask:0xf// 0000000084DC: 0B3938FA FF015C10
	v_mul_f32_dpp v157, v16, v157 row_newbcast:13 row_mask:0xf bank_mask:0xf// 0000000084E4: 0B3B3AFA FF015D10
	v_mul_f32_dpp v158, v16, v158 row_newbcast:14 row_mask:0xf bank_mask:0xf// 0000000084EC: 0B3D3CFA FF015E10
	v_mul_f32_dpp v159, v16, v159 row_newbcast:15 row_mask:0xf bank_mask:0xf// 0000000084F4: 0B3F3EFA FF015F10
	v_cvt_f32_i32_e32 v160, v160                               // 0000000084FC: 7F400BA0
	v_cvt_f32_i32_e32 v161, v161                               // 000000008500: 7F420BA1
	v_cvt_f32_i32_e32 v162, v162                               // 000000008504: 7F440BA2
	v_cvt_f32_i32_e32 v163, v163                               // 000000008508: 7F460BA3
	v_mul_f32_e32 v160, v14, v160                              // 00000000850C: 0B41410E
	v_mul_f32_e32 v161, v14, v161                              // 000000008510: 0B43430E
	v_mul_f32_e32 v162, v14, v162                              // 000000008514: 0B45450E
	v_mul_f32_e32 v163, v14, v163                              // 000000008518: 0B47470E
	v_mul_f32_dpp v160, v17, v160 row_newbcast:0 row_mask:0xf bank_mask:0xf// 00000000851C: 0B4140FA FF015011
	v_mul_f32_dpp v161, v17, v161 row_newbcast:1 row_mask:0xf bank_mask:0xf// 000000008524: 0B4342FA FF015111
	v_mul_f32_dpp v162, v17, v162 row_newbcast:2 row_mask:0xf bank_mask:0xf// 00000000852C: 0B4544FA FF015211
	v_mul_f32_dpp v163, v17, v163 row_newbcast:3 row_mask:0xf bank_mask:0xf// 000000008534: 0B4746FA FF015311
	v_cvt_f32_i32_e32 v164, v164                               // 00000000853C: 7F480BA4
	v_cvt_f32_i32_e32 v165, v165                               // 000000008540: 7F4A0BA5
	v_cvt_f32_i32_e32 v166, v166                               // 000000008544: 7F4C0BA6
	v_cvt_f32_i32_e32 v167, v167                               // 000000008548: 7F4E0BA7
	v_mul_f32_e32 v164, v15, v164                              // 00000000854C: 0B49490F
	v_mul_f32_e32 v165, v15, v165                              // 000000008550: 0B4B4B0F
	v_mul_f32_e32 v166, v15, v166                              // 000000008554: 0B4D4D0F
	v_mul_f32_e32 v167, v15, v167                              // 000000008558: 0B4F4F0F
	v_mul_f32_dpp v164, v17, v164 row_newbcast:0 row_mask:0xf bank_mask:0xf// 00000000855C: 0B4948FA FF015011
	v_mul_f32_dpp v165, v17, v165 row_newbcast:1 row_mask:0xf bank_mask:0xf// 000000008564: 0B4B4AFA FF015111
	v_mul_f32_dpp v166, v17, v166 row_newbcast:2 row_mask:0xf bank_mask:0xf// 00000000856C: 0B4D4CFA FF015211
	v_mul_f32_dpp v167, v17, v167 row_newbcast:3 row_mask:0xf bank_mask:0xf// 000000008574: 0B4F4EFA FF015311
	v_cvt_f32_i32_e32 v168, v168                               // 00000000857C: 7F500BA8
	v_cvt_f32_i32_e32 v169, v169                               // 000000008580: 7F520BA9
	v_cvt_f32_i32_e32 v170, v170                               // 000000008584: 7F540BAA
	v_cvt_f32_i32_e32 v171, v171                               // 000000008588: 7F560BAB
	v_mul_f32_e32 v168, v14, v168                              // 00000000858C: 0B51510E
	v_mul_f32_e32 v169, v14, v169                              // 000000008590: 0B53530E
	v_mul_f32_e32 v170, v14, v170                              // 000000008594: 0B55550E
	v_mul_f32_e32 v171, v14, v171                              // 000000008598: 0B57570E
	v_mul_f32_dpp v168, v17, v168 row_newbcast:4 row_mask:0xf bank_mask:0xf// 00000000859C: 0B5150FA FF015411
	v_mul_f32_dpp v169, v17, v169 row_newbcast:5 row_mask:0xf bank_mask:0xf// 0000000085A4: 0B5352FA FF015511
	v_mul_f32_dpp v170, v17, v170 row_newbcast:6 row_mask:0xf bank_mask:0xf// 0000000085AC: 0B5554FA FF015611
	v_mul_f32_dpp v171, v17, v171 row_newbcast:7 row_mask:0xf bank_mask:0xf// 0000000085B4: 0B5756FA FF015711
	v_cvt_f32_i32_e32 v172, v172                               // 0000000085BC: 7F580BAC
	v_cvt_f32_i32_e32 v173, v173                               // 0000000085C0: 7F5A0BAD
	v_cvt_f32_i32_e32 v174, v174                               // 0000000085C4: 7F5C0BAE
	v_cvt_f32_i32_e32 v175, v175                               // 0000000085C8: 7F5E0BAF
	v_mul_f32_e32 v172, v15, v172                              // 0000000085CC: 0B59590F
	v_mul_f32_e32 v173, v15, v173                              // 0000000085D0: 0B5B5B0F
	v_mul_f32_e32 v174, v15, v174                              // 0000000085D4: 0B5D5D0F
	v_mul_f32_e32 v175, v15, v175                              // 0000000085D8: 0B5F5F0F
	v_mul_f32_dpp v172, v17, v172 row_newbcast:4 row_mask:0xf bank_mask:0xf// 0000000085DC: 0B5958FA FF015411
	v_mul_f32_dpp v173, v17, v173 row_newbcast:5 row_mask:0xf bank_mask:0xf// 0000000085E4: 0B5B5AFA FF015511
	v_mul_f32_dpp v174, v17, v174 row_newbcast:6 row_mask:0xf bank_mask:0xf// 0000000085EC: 0B5D5CFA FF015611
	v_mul_f32_dpp v175, v17, v175 row_newbcast:7 row_mask:0xf bank_mask:0xf// 0000000085F4: 0B5F5EFA FF015711
	v_cvt_f32_i32_e32 v176, v176                               // 0000000085FC: 7F600BB0
	v_cvt_f32_i32_e32 v177, v177                               // 000000008600: 7F620BB1
	v_cvt_f32_i32_e32 v178, v178                               // 000000008604: 7F640BB2
	v_cvt_f32_i32_e32 v179, v179                               // 000000008608: 7F660BB3
	v_mul_f32_e32 v176, v14, v176                              // 00000000860C: 0B61610E
	v_mul_f32_e32 v177, v14, v177                              // 000000008610: 0B63630E
	v_mul_f32_e32 v178, v14, v178                              // 000000008614: 0B65650E
	v_mul_f32_e32 v179, v14, v179                              // 000000008618: 0B67670E
	v_mul_f32_dpp v176, v17, v176 row_newbcast:8 row_mask:0xf bank_mask:0xf// 00000000861C: 0B6160FA FF015811
	v_mul_f32_dpp v177, v17, v177 row_newbcast:9 row_mask:0xf bank_mask:0xf// 000000008624: 0B6362FA FF015911
	v_mul_f32_dpp v178, v17, v178 row_newbcast:10 row_mask:0xf bank_mask:0xf// 00000000862C: 0B6564FA FF015A11
	v_mul_f32_dpp v179, v17, v179 row_newbcast:11 row_mask:0xf bank_mask:0xf// 000000008634: 0B6766FA FF015B11
	v_cvt_f32_i32_e32 v180, v180                               // 00000000863C: 7F680BB4
	v_cvt_f32_i32_e32 v181, v181                               // 000000008640: 7F6A0BB5
	v_cvt_f32_i32_e32 v182, v182                               // 000000008644: 7F6C0BB6
	v_cvt_f32_i32_e32 v183, v183                               // 000000008648: 7F6E0BB7
	v_mul_f32_e32 v180, v15, v180                              // 00000000864C: 0B69690F
	v_mul_f32_e32 v181, v15, v181                              // 000000008650: 0B6B6B0F
	v_mul_f32_e32 v182, v15, v182                              // 000000008654: 0B6D6D0F
	v_mul_f32_e32 v183, v15, v183                              // 000000008658: 0B6F6F0F
	v_mul_f32_dpp v180, v17, v180 row_newbcast:8 row_mask:0xf bank_mask:0xf// 00000000865C: 0B6968FA FF015811
	v_mul_f32_dpp v181, v17, v181 row_newbcast:9 row_mask:0xf bank_mask:0xf// 000000008664: 0B6B6AFA FF015911
	v_mul_f32_dpp v182, v17, v182 row_newbcast:10 row_mask:0xf bank_mask:0xf// 00000000866C: 0B6D6CFA FF015A11
	v_mul_f32_dpp v183, v17, v183 row_newbcast:11 row_mask:0xf bank_mask:0xf// 000000008674: 0B6F6EFA FF015B11
	v_cvt_f32_i32_e32 v184, v184                               // 00000000867C: 7F700BB8
	v_cvt_f32_i32_e32 v185, v185                               // 000000008680: 7F720BB9
	v_cvt_f32_i32_e32 v186, v186                               // 000000008684: 7F740BBA
	v_cvt_f32_i32_e32 v187, v187                               // 000000008688: 7F760BBB
	v_mul_f32_e32 v184, v14, v184                              // 00000000868C: 0B71710E
	v_mul_f32_e32 v185, v14, v185                              // 000000008690: 0B73730E
	v_mul_f32_e32 v186, v14, v186                              // 000000008694: 0B75750E
	v_mul_f32_e32 v187, v14, v187                              // 000000008698: 0B77770E
	v_mul_f32_dpp v184, v17, v184 row_newbcast:12 row_mask:0xf bank_mask:0xf// 00000000869C: 0B7170FA FF015C11
	v_mul_f32_dpp v185, v17, v185 row_newbcast:13 row_mask:0xf bank_mask:0xf// 0000000086A4: 0B7372FA FF015D11
	v_mul_f32_dpp v186, v17, v186 row_newbcast:14 row_mask:0xf bank_mask:0xf// 0000000086AC: 0B7574FA FF015E11
	v_mul_f32_dpp v187, v17, v187 row_newbcast:15 row_mask:0xf bank_mask:0xf// 0000000086B4: 0B7776FA FF015F11
	v_cvt_f32_i32_e32 v188, v188                               // 0000000086BC: 7F780BBC
	v_cvt_f32_i32_e32 v189, v189                               // 0000000086C0: 7F7A0BBD
	v_cvt_f32_i32_e32 v190, v190                               // 0000000086C4: 7F7C0BBE
	v_cvt_f32_i32_e32 v191, v191                               // 0000000086C8: 7F7E0BBF
	v_mul_f32_e32 v188, v15, v188                              // 0000000086CC: 0B79790F
	v_mul_f32_e32 v189, v15, v189                              // 0000000086D0: 0B7B7B0F
	v_mul_f32_e32 v190, v15, v190                              // 0000000086D4: 0B7D7D0F
	v_mul_f32_e32 v191, v15, v191                              // 0000000086D8: 0B7F7F0F
	v_mul_f32_dpp v188, v17, v188 row_newbcast:12 row_mask:0xf bank_mask:0xf// 0000000086DC: 0B7978FA FF015C11
	v_mul_f32_dpp v189, v17, v189 row_newbcast:13 row_mask:0xf bank_mask:0xf// 0000000086E4: 0B7B7AFA FF015D11
	v_mul_f32_dpp v190, v17, v190 row_newbcast:14 row_mask:0xf bank_mask:0xf// 0000000086EC: 0B7D7CFA FF015E11
	v_mul_f32_dpp v191, v17, v191 row_newbcast:15 row_mask:0xf bank_mask:0xf// 0000000086F4: 0B7F7EFA FF015F11
	s_waitcnt vmcnt(24)                                        // 0000000086FC: BF8C4F78
	buffer_load_dwordx4 a[0:3], v42, s[12:15], 0 offen         // 000000008700: E05C1000 8083002A
	v_mul_f32_e64 v54, -v128, s6                               // 000000008708: D1050036 20000D80
	v_mul_f32_e64 v55, -v129, s6                               // 000000008710: D1050037 20000D81
	v_mul_f32_e64 v56, -v130, s6                               // 000000008718: D1050038 20000D82
	v_mul_f32_e64 v57, -v131, s6                               // 000000008720: D1050039 20000D83
	v_exp_f32_e32 v54, v54                                     // 000000008728: 7E6C4136
	v_exp_f32_e32 v55, v55                                     // 00000000872C: 7E6E4137
	v_exp_f32_e32 v56, v56                                     // 000000008730: 7E704138
	v_exp_f32_e32 v57, v57                                     // 000000008734: 7E724139
	buffer_load_dwordx4 a[4:7], v42, s[12:15], 0 offen offset:1024// 000000008738: E05C1400 8083042A
	v_add_f32_e64 v54, v54, 1.0                                // 000000008740: D1010036 0001E536
	v_add_f32_e64 v55, v55, 1.0                                // 000000008748: D1010037 0001E537
	v_add_f32_e64 v56, v56, 1.0                                // 000000008750: D1010038 0001E538
	v_add_f32_e64 v57, v57, 1.0                                // 000000008758: D1010039 0001E539
	v_rcp_f32_e32 v54, v54                                     // 000000008760: 7E6C4536
	v_rcp_f32_e32 v55, v55                                     // 000000008764: 7E6E4537
	v_rcp_f32_e32 v56, v56                                     // 000000008768: 7E704538
	v_rcp_f32_e32 v57, v57                                     // 00000000876C: 7E724539
	v_pk_mul_f32 v[128:129], v[128:129], v[54:55]              // 000000008770: D3B14080 18026D80
	v_pk_mul_f32 v[130:131], v[130:131], v[56:57]              // 000000008778: D3B14082 18027182
	buffer_load_dwordx4 a[8:11], v42, s[12:15], 0 offen offset:2048// 000000008780: E05C1800 8083082A
	v_mul_f32_e64 v54, -v132, s6                               // 000000008788: D1050036 20000D84
	v_mul_f32_e64 v55, -v133, s6                               // 000000008790: D1050037 20000D85
	v_mul_f32_e64 v56, -v134, s6                               // 000000008798: D1050038 20000D86
	v_mul_f32_e64 v57, -v135, s6                               // 0000000087A0: D1050039 20000D87
	v_exp_f32_e32 v54, v54                                     // 0000000087A8: 7E6C4136
	v_exp_f32_e32 v55, v55                                     // 0000000087AC: 7E6E4137
	v_exp_f32_e32 v56, v56                                     // 0000000087B0: 7E704138
	v_exp_f32_e32 v57, v57                                     // 0000000087B4: 7E724139
	buffer_load_dwordx4 a[12:15], v42, s[12:15], 0 offen offset:3072// 0000000087B8: E05C1C00 80830C2A
	v_add_f32_e64 v54, v54, 1.0                                // 0000000087C0: D1010036 0001E536
	v_add_f32_e64 v55, v55, 1.0                                // 0000000087C8: D1010037 0001E537
	v_add_f32_e64 v56, v56, 1.0                                // 0000000087D0: D1010038 0001E538
	v_add_f32_e64 v57, v57, 1.0                                // 0000000087D8: D1010039 0001E539
	v_rcp_f32_e32 v54, v54                                     // 0000000087E0: 7E6C4536
	v_rcp_f32_e32 v55, v55                                     // 0000000087E4: 7E6E4537
	v_rcp_f32_e32 v56, v56                                     // 0000000087E8: 7E704538
	v_rcp_f32_e32 v57, v57                                     // 0000000087EC: 7E724539
	v_pk_mul_f32 v[132:133], v[132:133], v[54:55]              // 0000000087F0: D3B14084 18026D84
	v_pk_mul_f32 v[134:135], v[134:135], v[56:57]              // 0000000087F8: D3B14086 18027186
	buffer_load_dwordx4 a[16:19], v43, s[12:15], 0 offen       // 000000008800: E05C1000 8083102B
	v_mul_f32_e64 v54, -v136, s6                               // 000000008808: D1050036 20000D88
	v_mul_f32_e64 v55, -v137, s6                               // 000000008810: D1050037 20000D89
	v_mul_f32_e64 v56, -v138, s6                               // 000000008818: D1050038 20000D8A
	v_mul_f32_e64 v57, -v139, s6                               // 000000008820: D1050039 20000D8B
	v_exp_f32_e32 v54, v54                                     // 000000008828: 7E6C4136
	v_exp_f32_e32 v55, v55                                     // 00000000882C: 7E6E4137
	v_exp_f32_e32 v56, v56                                     // 000000008830: 7E704138
	v_exp_f32_e32 v57, v57                                     // 000000008834: 7E724139
	buffer_load_dwordx4 a[20:23], v43, s[12:15], 0 offen offset:1024// 000000008838: E05C1400 8083142B
	v_add_f32_e64 v54, v54, 1.0                                // 000000008840: D1010036 0001E536
	v_add_f32_e64 v55, v55, 1.0                                // 000000008848: D1010037 0001E537
	v_add_f32_e64 v56, v56, 1.0                                // 000000008850: D1010038 0001E538
	v_add_f32_e64 v57, v57, 1.0                                // 000000008858: D1010039 0001E539
	v_rcp_f32_e32 v54, v54                                     // 000000008860: 7E6C4536
	v_rcp_f32_e32 v55, v55                                     // 000000008864: 7E6E4537
	v_rcp_f32_e32 v56, v56                                     // 000000008868: 7E704538
	v_rcp_f32_e32 v57, v57                                     // 00000000886C: 7E724539
	v_pk_mul_f32 v[136:137], v[136:137], v[54:55]              // 000000008870: D3B14088 18026D88
	v_pk_mul_f32 v[138:139], v[138:139], v[56:57]              // 000000008878: D3B1408A 1802718A
	buffer_load_dwordx4 a[24:27], v43, s[12:15], 0 offen offset:2048// 000000008880: E05C1800 8083182B
	v_mul_f32_e64 v54, -v140, s6                               // 000000008888: D1050036 20000D8C
	v_mul_f32_e64 v55, -v141, s6                               // 000000008890: D1050037 20000D8D
	v_mul_f32_e64 v56, -v142, s6                               // 000000008898: D1050038 20000D8E
	v_mul_f32_e64 v57, -v143, s6                               // 0000000088A0: D1050039 20000D8F
	v_exp_f32_e32 v54, v54                                     // 0000000088A8: 7E6C4136
	v_exp_f32_e32 v55, v55                                     // 0000000088AC: 7E6E4137
	v_exp_f32_e32 v56, v56                                     // 0000000088B0: 7E704138
	v_exp_f32_e32 v57, v57                                     // 0000000088B4: 7E724139
	buffer_load_dwordx4 a[28:31], v43, s[12:15], 0 offen offset:3072// 0000000088B8: E05C1C00 80831C2B
	v_add_f32_e64 v54, v54, 1.0                                // 0000000088C0: D1010036 0001E536
	v_add_f32_e64 v55, v55, 1.0                                // 0000000088C8: D1010037 0001E537
	v_add_f32_e64 v56, v56, 1.0                                // 0000000088D0: D1010038 0001E538
	v_add_f32_e64 v57, v57, 1.0                                // 0000000088D8: D1010039 0001E539
	v_rcp_f32_e32 v54, v54                                     // 0000000088E0: 7E6C4536
	v_rcp_f32_e32 v55, v55                                     // 0000000088E4: 7E6E4537
	v_rcp_f32_e32 v56, v56                                     // 0000000088E8: 7E704538
	v_rcp_f32_e32 v57, v57                                     // 0000000088EC: 7E724539
	v_pk_mul_f32 v[140:141], v[140:141], v[54:55]              // 0000000088F0: D3B1408C 18026D8C
	v_pk_mul_f32 v[142:143], v[142:143], v[56:57]              // 0000000088F8: D3B1408E 1802718E
	s_waitcnt vmcnt(24)                                        // 000000008900: BF8C4F78
	buffer_load_dwordx4 a[32:35], v44, s[12:15], 0 offen       // 000000008904: E05C1000 8083202C
	v_mul_f32_e64 v54, -v144, s6                               // 00000000890C: D1050036 20000D90
	v_mul_f32_e64 v55, -v145, s6                               // 000000008914: D1050037 20000D91
	v_mul_f32_e64 v56, -v146, s6                               // 00000000891C: D1050038 20000D92
	v_mul_f32_e64 v57, -v147, s6                               // 000000008924: D1050039 20000D93
	v_exp_f32_e32 v54, v54                                     // 00000000892C: 7E6C4136
	v_exp_f32_e32 v55, v55                                     // 000000008930: 7E6E4137
	v_exp_f32_e32 v56, v56                                     // 000000008934: 7E704138
	v_exp_f32_e32 v57, v57                                     // 000000008938: 7E724139
	buffer_load_dwordx4 a[36:39], v44, s[12:15], 0 offen offset:1024// 00000000893C: E05C1400 8083242C
	v_add_f32_e64 v54, v54, 1.0                                // 000000008944: D1010036 0001E536
	v_add_f32_e64 v55, v55, 1.0                                // 00000000894C: D1010037 0001E537
	v_add_f32_e64 v56, v56, 1.0                                // 000000008954: D1010038 0001E538
	v_add_f32_e64 v57, v57, 1.0                                // 00000000895C: D1010039 0001E539
	v_rcp_f32_e32 v54, v54                                     // 000000008964: 7E6C4536
	v_rcp_f32_e32 v55, v55                                     // 000000008968: 7E6E4537
	v_rcp_f32_e32 v56, v56                                     // 00000000896C: 7E704538
	v_rcp_f32_e32 v57, v57                                     // 000000008970: 7E724539
	v_pk_mul_f32 v[144:145], v[144:145], v[54:55]              // 000000008974: D3B14090 18026D90
	v_pk_mul_f32 v[146:147], v[146:147], v[56:57]              // 00000000897C: D3B14092 18027192
	buffer_load_dwordx4 a[40:43], v44, s[12:15], 0 offen offset:2048// 000000008984: E05C1800 8083282C
	v_mul_f32_e64 v54, -v148, s6                               // 00000000898C: D1050036 20000D94
	v_mul_f32_e64 v55, -v149, s6                               // 000000008994: D1050037 20000D95
	v_mul_f32_e64 v56, -v150, s6                               // 00000000899C: D1050038 20000D96
	v_mul_f32_e64 v57, -v151, s6                               // 0000000089A4: D1050039 20000D97
	v_exp_f32_e32 v54, v54                                     // 0000000089AC: 7E6C4136
	v_exp_f32_e32 v55, v55                                     // 0000000089B0: 7E6E4137
	v_exp_f32_e32 v56, v56                                     // 0000000089B4: 7E704138
	v_exp_f32_e32 v57, v57                                     // 0000000089B8: 7E724139
	buffer_load_dwordx4 a[44:47], v44, s[12:15], 0 offen offset:3072// 0000000089BC: E05C1C00 80832C2C
	v_add_f32_e64 v54, v54, 1.0                                // 0000000089C4: D1010036 0001E536
	v_add_f32_e64 v55, v55, 1.0                                // 0000000089CC: D1010037 0001E537
	v_add_f32_e64 v56, v56, 1.0                                // 0000000089D4: D1010038 0001E538
	v_add_f32_e64 v57, v57, 1.0                                // 0000000089DC: D1010039 0001E539
	v_rcp_f32_e32 v54, v54                                     // 0000000089E4: 7E6C4536
	v_rcp_f32_e32 v55, v55                                     // 0000000089E8: 7E6E4537
	v_rcp_f32_e32 v56, v56                                     // 0000000089EC: 7E704538
	v_rcp_f32_e32 v57, v57                                     // 0000000089F0: 7E724539
	v_pk_mul_f32 v[148:149], v[148:149], v[54:55]              // 0000000089F4: D3B14094 18026D94
	v_pk_mul_f32 v[150:151], v[150:151], v[56:57]              // 0000000089FC: D3B14096 18027196
	buffer_load_dwordx4 a[48:51], v45, s[12:15], 0 offen       // 000000008A04: E05C1000 8083302D
	v_mul_f32_e64 v54, -v152, s6                               // 000000008A0C: D1050036 20000D98
	v_mul_f32_e64 v55, -v153, s6                               // 000000008A14: D1050037 20000D99
	v_mul_f32_e64 v56, -v154, s6                               // 000000008A1C: D1050038 20000D9A
	v_mul_f32_e64 v57, -v155, s6                               // 000000008A24: D1050039 20000D9B
	v_exp_f32_e32 v54, v54                                     // 000000008A2C: 7E6C4136
	v_exp_f32_e32 v55, v55                                     // 000000008A30: 7E6E4137
	v_exp_f32_e32 v56, v56                                     // 000000008A34: 7E704138
	v_exp_f32_e32 v57, v57                                     // 000000008A38: 7E724139
	buffer_load_dwordx4 a[52:55], v45, s[12:15], 0 offen offset:1024// 000000008A3C: E05C1400 8083342D
	v_add_f32_e64 v54, v54, 1.0                                // 000000008A44: D1010036 0001E536
	v_add_f32_e64 v55, v55, 1.0                                // 000000008A4C: D1010037 0001E537
	v_add_f32_e64 v56, v56, 1.0                                // 000000008A54: D1010038 0001E538
	v_add_f32_e64 v57, v57, 1.0                                // 000000008A5C: D1010039 0001E539
	v_rcp_f32_e32 v54, v54                                     // 000000008A64: 7E6C4536
	v_rcp_f32_e32 v55, v55                                     // 000000008A68: 7E6E4537
	v_rcp_f32_e32 v56, v56                                     // 000000008A6C: 7E704538
	v_rcp_f32_e32 v57, v57                                     // 000000008A70: 7E724539
	v_pk_mul_f32 v[152:153], v[152:153], v[54:55]              // 000000008A74: D3B14098 18026D98
	v_pk_mul_f32 v[154:155], v[154:155], v[56:57]              // 000000008A7C: D3B1409A 1802719A
	buffer_load_dwordx4 a[56:59], v45, s[12:15], 0 offen offset:2048// 000000008A84: E05C1800 8083382D
	v_mul_f32_e64 v54, -v156, s6                               // 000000008A8C: D1050036 20000D9C
	v_mul_f32_e64 v55, -v157, s6                               // 000000008A94: D1050037 20000D9D
	v_mul_f32_e64 v56, -v158, s6                               // 000000008A9C: D1050038 20000D9E
	v_mul_f32_e64 v57, -v159, s6                               // 000000008AA4: D1050039 20000D9F
	v_exp_f32_e32 v54, v54                                     // 000000008AAC: 7E6C4136
	v_exp_f32_e32 v55, v55                                     // 000000008AB0: 7E6E4137
	v_exp_f32_e32 v56, v56                                     // 000000008AB4: 7E704138
	v_exp_f32_e32 v57, v57                                     // 000000008AB8: 7E724139
	buffer_load_dwordx4 a[60:63], v45, s[12:15], 0 offen offset:3072// 000000008ABC: E05C1C00 80833C2D
	s_add_u32 s12, s78, s12                                    // 000000008AC4: 800C0C4E
	s_addc_u32 s13, 0, s13                                     // 000000008AC8: 820D0D80
	v_add_f32_e64 v54, v54, 1.0                                // 000000008ACC: D1010036 0001E536
	v_add_f32_e64 v55, v55, 1.0                                // 000000008AD4: D1010037 0001E537
	v_add_f32_e64 v56, v56, 1.0                                // 000000008ADC: D1010038 0001E538
	v_add_f32_e64 v57, v57, 1.0                                // 000000008AE4: D1010039 0001E539
	v_rcp_f32_e32 v54, v54                                     // 000000008AEC: 7E6C4536
	v_rcp_f32_e32 v55, v55                                     // 000000008AF0: 7E6E4537
	v_rcp_f32_e32 v56, v56                                     // 000000008AF4: 7E704538
	v_rcp_f32_e32 v57, v57                                     // 000000008AF8: 7E724539
	v_pk_mul_f32 v[156:157], v[156:157], v[54:55]              // 000000008AFC: D3B1409C 18026D9C
	v_pk_mul_f32 v[158:159], v[158:159], v[56:57]              // 000000008B04: D3B1409E 1802719E
	s_waitcnt vmcnt(24)                                        // 000000008B0C: BF8C4F78
	buffer_load_dwordx4 a[64:67], v42, s[12:15], 0 offen       // 000000008B10: E05C1000 8083402A
	v_mul_f32_e64 v54, -v160, s6                               // 000000008B18: D1050036 20000DA0
	v_mul_f32_e64 v55, -v161, s6                               // 000000008B20: D1050037 20000DA1
	v_mul_f32_e64 v56, -v162, s6                               // 000000008B28: D1050038 20000DA2
	v_mul_f32_e64 v57, -v163, s6                               // 000000008B30: D1050039 20000DA3
	v_exp_f32_e32 v54, v54                                     // 000000008B38: 7E6C4136
	v_exp_f32_e32 v55, v55                                     // 000000008B3C: 7E6E4137
	v_exp_f32_e32 v56, v56                                     // 000000008B40: 7E704138
	v_exp_f32_e32 v57, v57                                     // 000000008B44: 7E724139
	buffer_load_dwordx4 a[68:71], v42, s[12:15], 0 offen offset:1024// 000000008B48: E05C1400 8083442A
	v_add_f32_e64 v54, v54, 1.0                                // 000000008B50: D1010036 0001E536
	v_add_f32_e64 v55, v55, 1.0                                // 000000008B58: D1010037 0001E537
	v_add_f32_e64 v56, v56, 1.0                                // 000000008B60: D1010038 0001E538
	v_add_f32_e64 v57, v57, 1.0                                // 000000008B68: D1010039 0001E539
	v_rcp_f32_e32 v54, v54                                     // 000000008B70: 7E6C4536
	v_rcp_f32_e32 v55, v55                                     // 000000008B74: 7E6E4537
	v_rcp_f32_e32 v56, v56                                     // 000000008B78: 7E704538
	v_rcp_f32_e32 v57, v57                                     // 000000008B7C: 7E724539
	v_pk_mul_f32 v[160:161], v[160:161], v[54:55]              // 000000008B80: D3B140A0 18026DA0
	v_pk_mul_f32 v[162:163], v[162:163], v[56:57]              // 000000008B88: D3B140A2 180271A2
	buffer_load_dwordx4 a[72:75], v42, s[12:15], 0 offen offset:2048// 000000008B90: E05C1800 8083482A
	v_mul_f32_e64 v54, -v164, s6                               // 000000008B98: D1050036 20000DA4
	v_mul_f32_e64 v55, -v165, s6                               // 000000008BA0: D1050037 20000DA5
	v_mul_f32_e64 v56, -v166, s6                               // 000000008BA8: D1050038 20000DA6
	v_mul_f32_e64 v57, -v167, s6                               // 000000008BB0: D1050039 20000DA7
	v_exp_f32_e32 v54, v54                                     // 000000008BB8: 7E6C4136
	v_exp_f32_e32 v55, v55                                     // 000000008BBC: 7E6E4137
	v_exp_f32_e32 v56, v56                                     // 000000008BC0: 7E704138
	v_exp_f32_e32 v57, v57                                     // 000000008BC4: 7E724139
	buffer_load_dwordx4 a[76:79], v42, s[12:15], 0 offen offset:3072// 000000008BC8: E05C1C00 80834C2A
	v_add_f32_e64 v54, v54, 1.0                                // 000000008BD0: D1010036 0001E536
	v_add_f32_e64 v55, v55, 1.0                                // 000000008BD8: D1010037 0001E537
	v_add_f32_e64 v56, v56, 1.0                                // 000000008BE0: D1010038 0001E538
	v_add_f32_e64 v57, v57, 1.0                                // 000000008BE8: D1010039 0001E539
	v_rcp_f32_e32 v54, v54                                     // 000000008BF0: 7E6C4536
	v_rcp_f32_e32 v55, v55                                     // 000000008BF4: 7E6E4537
	v_rcp_f32_e32 v56, v56                                     // 000000008BF8: 7E704538
	v_rcp_f32_e32 v57, v57                                     // 000000008BFC: 7E724539
	v_pk_mul_f32 v[164:165], v[164:165], v[54:55]              // 000000008C00: D3B140A4 18026DA4
	v_pk_mul_f32 v[166:167], v[166:167], v[56:57]              // 000000008C08: D3B140A6 180271A6
	buffer_load_dwordx4 a[80:83], v43, s[12:15], 0 offen       // 000000008C10: E05C1000 8083502B
	v_mul_f32_e64 v54, -v168, s6                               // 000000008C18: D1050036 20000DA8
	v_mul_f32_e64 v55, -v169, s6                               // 000000008C20: D1050037 20000DA9
	v_mul_f32_e64 v56, -v170, s6                               // 000000008C28: D1050038 20000DAA
	v_mul_f32_e64 v57, -v171, s6                               // 000000008C30: D1050039 20000DAB
	v_exp_f32_e32 v54, v54                                     // 000000008C38: 7E6C4136
	v_exp_f32_e32 v55, v55                                     // 000000008C3C: 7E6E4137
	v_exp_f32_e32 v56, v56                                     // 000000008C40: 7E704138
	v_exp_f32_e32 v57, v57                                     // 000000008C44: 7E724139
	buffer_load_dwordx4 a[84:87], v43, s[12:15], 0 offen offset:1024// 000000008C48: E05C1400 8083542B
	v_add_f32_e64 v54, v54, 1.0                                // 000000008C50: D1010036 0001E536
	v_add_f32_e64 v55, v55, 1.0                                // 000000008C58: D1010037 0001E537
	v_add_f32_e64 v56, v56, 1.0                                // 000000008C60: D1010038 0001E538
	v_add_f32_e64 v57, v57, 1.0                                // 000000008C68: D1010039 0001E539
	v_rcp_f32_e32 v54, v54                                     // 000000008C70: 7E6C4536
	v_rcp_f32_e32 v55, v55                                     // 000000008C74: 7E6E4537
	v_rcp_f32_e32 v56, v56                                     // 000000008C78: 7E704538
	v_rcp_f32_e32 v57, v57                                     // 000000008C7C: 7E724539
	v_pk_mul_f32 v[168:169], v[168:169], v[54:55]              // 000000008C80: D3B140A8 18026DA8
	v_pk_mul_f32 v[170:171], v[170:171], v[56:57]              // 000000008C88: D3B140AA 180271AA
	buffer_load_dwordx4 a[88:91], v43, s[12:15], 0 offen offset:2048// 000000008C90: E05C1800 8083582B
	v_mul_f32_e64 v54, -v172, s6                               // 000000008C98: D1050036 20000DAC
	v_mul_f32_e64 v55, -v173, s6                               // 000000008CA0: D1050037 20000DAD
	v_mul_f32_e64 v56, -v174, s6                               // 000000008CA8: D1050038 20000DAE
	v_mul_f32_e64 v57, -v175, s6                               // 000000008CB0: D1050039 20000DAF
	v_exp_f32_e32 v54, v54                                     // 000000008CB8: 7E6C4136
	v_exp_f32_e32 v55, v55                                     // 000000008CBC: 7E6E4137
	v_exp_f32_e32 v56, v56                                     // 000000008CC0: 7E704138
	v_exp_f32_e32 v57, v57                                     // 000000008CC4: 7E724139
	buffer_load_dwordx4 a[92:95], v43, s[12:15], 0 offen offset:3072// 000000008CC8: E05C1C00 80835C2B
	v_add_f32_e64 v54, v54, 1.0                                // 000000008CD0: D1010036 0001E536
	v_add_f32_e64 v55, v55, 1.0                                // 000000008CD8: D1010037 0001E537
	v_add_f32_e64 v56, v56, 1.0                                // 000000008CE0: D1010038 0001E538
	v_add_f32_e64 v57, v57, 1.0                                // 000000008CE8: D1010039 0001E539
	v_rcp_f32_e32 v54, v54                                     // 000000008CF0: 7E6C4536
	v_rcp_f32_e32 v55, v55                                     // 000000008CF4: 7E6E4537
	v_rcp_f32_e32 v56, v56                                     // 000000008CF8: 7E704538
	v_rcp_f32_e32 v57, v57                                     // 000000008CFC: 7E724539
	v_pk_mul_f32 v[172:173], v[172:173], v[54:55]              // 000000008D00: D3B140AC 18026DAC
	v_pk_mul_f32 v[174:175], v[174:175], v[56:57]              // 000000008D08: D3B140AE 180271AE
	s_waitcnt vmcnt(24)                                        // 000000008D10: BF8C4F78
	buffer_load_dwordx4 a[96:99], v44, s[12:15], 0 offen       // 000000008D14: E05C1000 8083602C
	v_mul_f32_e64 v54, -v176, s6                               // 000000008D1C: D1050036 20000DB0
	v_mul_f32_e64 v55, -v177, s6                               // 000000008D24: D1050037 20000DB1
	v_mul_f32_e64 v56, -v178, s6                               // 000000008D2C: D1050038 20000DB2
	v_mul_f32_e64 v57, -v179, s6                               // 000000008D34: D1050039 20000DB3
	v_exp_f32_e32 v54, v54                                     // 000000008D3C: 7E6C4136
	v_exp_f32_e32 v55, v55                                     // 000000008D40: 7E6E4137
	v_exp_f32_e32 v56, v56                                     // 000000008D44: 7E704138
	v_exp_f32_e32 v57, v57                                     // 000000008D48: 7E724139
	buffer_load_dwordx4 a[100:103], v44, s[12:15], 0 offen offset:1024// 000000008D4C: E05C1400 8083642C
	v_add_f32_e64 v54, v54, 1.0                                // 000000008D54: D1010036 0001E536
	v_add_f32_e64 v55, v55, 1.0                                // 000000008D5C: D1010037 0001E537
	v_add_f32_e64 v56, v56, 1.0                                // 000000008D64: D1010038 0001E538
	v_add_f32_e64 v57, v57, 1.0                                // 000000008D6C: D1010039 0001E539
	v_rcp_f32_e32 v54, v54                                     // 000000008D74: 7E6C4536
	v_rcp_f32_e32 v55, v55                                     // 000000008D78: 7E6E4537
	v_rcp_f32_e32 v56, v56                                     // 000000008D7C: 7E704538
	v_rcp_f32_e32 v57, v57                                     // 000000008D80: 7E724539
	v_pk_mul_f32 v[176:177], v[176:177], v[54:55]              // 000000008D84: D3B140B0 18026DB0
	v_pk_mul_f32 v[178:179], v[178:179], v[56:57]              // 000000008D8C: D3B140B2 180271B2
	buffer_load_dwordx4 a[104:107], v44, s[12:15], 0 offen offset:2048// 000000008D94: E05C1800 8083682C
	v_mul_f32_e64 v54, -v180, s6                               // 000000008D9C: D1050036 20000DB4
	v_mul_f32_e64 v55, -v181, s6                               // 000000008DA4: D1050037 20000DB5
	v_mul_f32_e64 v56, -v182, s6                               // 000000008DAC: D1050038 20000DB6
	v_mul_f32_e64 v57, -v183, s6                               // 000000008DB4: D1050039 20000DB7
	v_exp_f32_e32 v54, v54                                     // 000000008DBC: 7E6C4136
	v_exp_f32_e32 v55, v55                                     // 000000008DC0: 7E6E4137
	v_exp_f32_e32 v56, v56                                     // 000000008DC4: 7E704138
	v_exp_f32_e32 v57, v57                                     // 000000008DC8: 7E724139
	buffer_load_dwordx4 a[108:111], v44, s[12:15], 0 offen offset:3072// 000000008DCC: E05C1C00 80836C2C
	v_add_f32_e64 v54, v54, 1.0                                // 000000008DD4: D1010036 0001E536
	v_add_f32_e64 v55, v55, 1.0                                // 000000008DDC: D1010037 0001E537
	v_add_f32_e64 v56, v56, 1.0                                // 000000008DE4: D1010038 0001E538
	v_add_f32_e64 v57, v57, 1.0                                // 000000008DEC: D1010039 0001E539
	v_rcp_f32_e32 v54, v54                                     // 000000008DF4: 7E6C4536
	v_rcp_f32_e32 v55, v55                                     // 000000008DF8: 7E6E4537
	v_rcp_f32_e32 v56, v56                                     // 000000008DFC: 7E704538
	v_rcp_f32_e32 v57, v57                                     // 000000008E00: 7E724539
	v_pk_mul_f32 v[180:181], v[180:181], v[54:55]              // 000000008E04: D3B140B4 18026DB4
	v_pk_mul_f32 v[182:183], v[182:183], v[56:57]              // 000000008E0C: D3B140B6 180271B6
	buffer_load_dwordx4 a[112:115], v45, s[12:15], 0 offen     // 000000008E14: E05C1000 8083702D
	v_mul_f32_e64 v54, -v184, s6                               // 000000008E1C: D1050036 20000DB8
	v_mul_f32_e64 v55, -v185, s6                               // 000000008E24: D1050037 20000DB9
	v_mul_f32_e64 v56, -v186, s6                               // 000000008E2C: D1050038 20000DBA
	v_mul_f32_e64 v57, -v187, s6                               // 000000008E34: D1050039 20000DBB
	v_exp_f32_e32 v54, v54                                     // 000000008E3C: 7E6C4136
	v_exp_f32_e32 v55, v55                                     // 000000008E40: 7E6E4137
	v_exp_f32_e32 v56, v56                                     // 000000008E44: 7E704138
	v_exp_f32_e32 v57, v57                                     // 000000008E48: 7E724139
	buffer_load_dwordx4 a[116:119], v45, s[12:15], 0 offen offset:1024// 000000008E4C: E05C1400 8083742D
	v_add_f32_e64 v54, v54, 1.0                                // 000000008E54: D1010036 0001E536
	v_add_f32_e64 v55, v55, 1.0                                // 000000008E5C: D1010037 0001E537
	v_add_f32_e64 v56, v56, 1.0                                // 000000008E64: D1010038 0001E538
	v_add_f32_e64 v57, v57, 1.0                                // 000000008E6C: D1010039 0001E539
	v_rcp_f32_e32 v54, v54                                     // 000000008E74: 7E6C4536
	v_rcp_f32_e32 v55, v55                                     // 000000008E78: 7E6E4537
	v_rcp_f32_e32 v56, v56                                     // 000000008E7C: 7E704538
	v_rcp_f32_e32 v57, v57                                     // 000000008E80: 7E724539
	v_pk_mul_f32 v[184:185], v[184:185], v[54:55]              // 000000008E84: D3B140B8 18026DB8
	v_pk_mul_f32 v[186:187], v[186:187], v[56:57]              // 000000008E8C: D3B140BA 180271BA
	buffer_load_dwordx4 a[120:123], v45, s[12:15], 0 offen offset:2048// 000000008E94: E05C1800 8083782D
	v_mul_f32_e64 v54, -v188, s6                               // 000000008E9C: D1050036 20000DBC
	v_mul_f32_e64 v55, -v189, s6                               // 000000008EA4: D1050037 20000DBD
	v_mul_f32_e64 v56, -v190, s6                               // 000000008EAC: D1050038 20000DBE
	v_mul_f32_e64 v57, -v191, s6                               // 000000008EB4: D1050039 20000DBF
	v_exp_f32_e32 v54, v54                                     // 000000008EBC: 7E6C4136
	v_exp_f32_e32 v55, v55                                     // 000000008EC0: 7E6E4137
	v_exp_f32_e32 v56, v56                                     // 000000008EC4: 7E704138
	v_exp_f32_e32 v57, v57                                     // 000000008EC8: 7E724139
	buffer_load_dwordx4 a[124:127], v45, s[12:15], 0 offen offset:3072// 000000008ECC: E05C1C00 80837C2D
	v_add_f32_e64 v54, v54, 1.0                                // 000000008ED4: D1010036 0001E536
	v_add_f32_e64 v55, v55, 1.0                                // 000000008EDC: D1010037 0001E537
	v_add_f32_e64 v56, v56, 1.0                                // 000000008EE4: D1010038 0001E538
	v_add_f32_e64 v57, v57, 1.0                                // 000000008EEC: D1010039 0001E539
	v_rcp_f32_e32 v54, v54                                     // 000000008EF4: 7E6C4536
	v_rcp_f32_e32 v55, v55                                     // 000000008EF8: 7E6E4537
	v_rcp_f32_e32 v56, v56                                     // 000000008EFC: 7E704538
	v_rcp_f32_e32 v57, v57                                     // 000000008F00: 7E724539
	v_pk_mul_f32 v[188:189], v[188:189], v[54:55]              // 000000008F04: D3B140BC 18026DBC
	v_pk_mul_f32 v[190:191], v[190:191], v[56:57]              // 000000008F0C: D3B140BE 180271BE
	v_mul_f32_dpp v128, v18, v128 row_newbcast:0 row_mask:0xf bank_mask:0xf// 000000008F14: 0B0100FA FF015012
	v_mul_f32_dpp v129, v18, v129 row_newbcast:1 row_mask:0xf bank_mask:0xf// 000000008F1C: 0B0302FA FF015112
	v_mul_f32_dpp v130, v18, v130 row_newbcast:2 row_mask:0xf bank_mask:0xf// 000000008F24: 0B0504FA FF015212
	v_mul_f32_dpp v131, v18, v131 row_newbcast:3 row_mask:0xf bank_mask:0xf// 000000008F2C: 0B0706FA FF015312
	v_mul_f32_dpp v132, v18, v132 row_newbcast:0 row_mask:0xf bank_mask:0xf// 000000008F34: 0B0908FA FF015012
	v_mul_f32_dpp v133, v18, v133 row_newbcast:1 row_mask:0xf bank_mask:0xf// 000000008F3C: 0B0B0AFA FF015112
	v_mul_f32_dpp v134, v18, v134 row_newbcast:2 row_mask:0xf bank_mask:0xf// 000000008F44: 0B0D0CFA FF015212
	v_mul_f32_dpp v135, v18, v135 row_newbcast:3 row_mask:0xf bank_mask:0xf// 000000008F4C: 0B0F0EFA FF015312
	v_mul_f32_dpp v136, v18, v136 row_newbcast:4 row_mask:0xf bank_mask:0xf// 000000008F54: 0B1110FA FF015412
	v_mul_f32_dpp v137, v18, v137 row_newbcast:5 row_mask:0xf bank_mask:0xf// 000000008F5C: 0B1312FA FF015512
	v_mul_f32_dpp v138, v18, v138 row_newbcast:6 row_mask:0xf bank_mask:0xf// 000000008F64: 0B1514FA FF015612
	v_mul_f32_dpp v139, v18, v139 row_newbcast:7 row_mask:0xf bank_mask:0xf// 000000008F6C: 0B1716FA FF015712
	v_mul_f32_dpp v140, v18, v140 row_newbcast:4 row_mask:0xf bank_mask:0xf// 000000008F74: 0B1918FA FF015412
	v_mul_f32_dpp v141, v18, v141 row_newbcast:5 row_mask:0xf bank_mask:0xf// 000000008F7C: 0B1B1AFA FF015512
	v_mul_f32_dpp v142, v18, v142 row_newbcast:6 row_mask:0xf bank_mask:0xf// 000000008F84: 0B1D1CFA FF015612
	v_mul_f32_dpp v143, v18, v143 row_newbcast:7 row_mask:0xf bank_mask:0xf// 000000008F8C: 0B1F1EFA FF015712
	v_mul_f32_dpp v144, v18, v144 row_newbcast:8 row_mask:0xf bank_mask:0xf// 000000008F94: 0B2120FA FF015812
	v_mul_f32_dpp v145, v18, v145 row_newbcast:9 row_mask:0xf bank_mask:0xf// 000000008F9C: 0B2322FA FF015912
	v_mul_f32_dpp v146, v18, v146 row_newbcast:10 row_mask:0xf bank_mask:0xf// 000000008FA4: 0B2524FA FF015A12
	v_mul_f32_dpp v147, v18, v147 row_newbcast:11 row_mask:0xf bank_mask:0xf// 000000008FAC: 0B2726FA FF015B12
	v_mul_f32_dpp v148, v18, v148 row_newbcast:8 row_mask:0xf bank_mask:0xf// 000000008FB4: 0B2928FA FF015812
	v_mul_f32_dpp v149, v18, v149 row_newbcast:9 row_mask:0xf bank_mask:0xf// 000000008FBC: 0B2B2AFA FF015912
	v_mul_f32_dpp v150, v18, v150 row_newbcast:10 row_mask:0xf bank_mask:0xf// 000000008FC4: 0B2D2CFA FF015A12
	v_mul_f32_dpp v151, v18, v151 row_newbcast:11 row_mask:0xf bank_mask:0xf// 000000008FCC: 0B2F2EFA FF015B12
	v_mul_f32_dpp v152, v18, v152 row_newbcast:12 row_mask:0xf bank_mask:0xf// 000000008FD4: 0B3130FA FF015C12
	v_mul_f32_dpp v153, v18, v153 row_newbcast:13 row_mask:0xf bank_mask:0xf// 000000008FDC: 0B3332FA FF015D12
	v_mul_f32_dpp v154, v18, v154 row_newbcast:14 row_mask:0xf bank_mask:0xf// 000000008FE4: 0B3534FA FF015E12
	v_mul_f32_dpp v155, v18, v155 row_newbcast:15 row_mask:0xf bank_mask:0xf// 000000008FEC: 0B3736FA FF015F12
	v_mul_f32_dpp v156, v18, v156 row_newbcast:12 row_mask:0xf bank_mask:0xf// 000000008FF4: 0B3938FA FF015C12
	v_mul_f32_dpp v157, v18, v157 row_newbcast:13 row_mask:0xf bank_mask:0xf// 000000008FFC: 0B3B3AFA FF015D12
	v_mul_f32_dpp v158, v18, v158 row_newbcast:14 row_mask:0xf bank_mask:0xf// 000000009004: 0B3D3CFA FF015E12
	v_mul_f32_dpp v159, v18, v159 row_newbcast:15 row_mask:0xf bank_mask:0xf// 00000000900C: 0B3F3EFA FF015F12
	v_mul_f32_dpp v160, v19, v160 row_newbcast:0 row_mask:0xf bank_mask:0xf// 000000009014: 0B4140FA FF015013
	v_mul_f32_dpp v161, v19, v161 row_newbcast:1 row_mask:0xf bank_mask:0xf// 00000000901C: 0B4342FA FF015113
	v_mul_f32_dpp v162, v19, v162 row_newbcast:2 row_mask:0xf bank_mask:0xf// 000000009024: 0B4544FA FF015213
	v_mul_f32_dpp v163, v19, v163 row_newbcast:3 row_mask:0xf bank_mask:0xf// 00000000902C: 0B4746FA FF015313
	v_mul_f32_dpp v164, v19, v164 row_newbcast:0 row_mask:0xf bank_mask:0xf// 000000009034: 0B4948FA FF015013
	v_mul_f32_dpp v165, v19, v165 row_newbcast:1 row_mask:0xf bank_mask:0xf// 00000000903C: 0B4B4AFA FF015113
	v_mul_f32_dpp v166, v19, v166 row_newbcast:2 row_mask:0xf bank_mask:0xf// 000000009044: 0B4D4CFA FF015213
	v_mul_f32_dpp v167, v19, v167 row_newbcast:3 row_mask:0xf bank_mask:0xf// 00000000904C: 0B4F4EFA FF015313
	v_mul_f32_dpp v168, v19, v168 row_newbcast:4 row_mask:0xf bank_mask:0xf// 000000009054: 0B5150FA FF015413
	v_mul_f32_dpp v169, v19, v169 row_newbcast:5 row_mask:0xf bank_mask:0xf// 00000000905C: 0B5352FA FF015513
	v_mul_f32_dpp v170, v19, v170 row_newbcast:6 row_mask:0xf bank_mask:0xf// 000000009064: 0B5554FA FF015613
	v_mul_f32_dpp v171, v19, v171 row_newbcast:7 row_mask:0xf bank_mask:0xf// 00000000906C: 0B5756FA FF015713
	v_mul_f32_dpp v172, v19, v172 row_newbcast:4 row_mask:0xf bank_mask:0xf// 000000009074: 0B5958FA FF015413
	v_mul_f32_dpp v173, v19, v173 row_newbcast:5 row_mask:0xf bank_mask:0xf// 00000000907C: 0B5B5AFA FF015513
	v_mul_f32_dpp v174, v19, v174 row_newbcast:6 row_mask:0xf bank_mask:0xf// 000000009084: 0B5D5CFA FF015613
	v_mul_f32_dpp v175, v19, v175 row_newbcast:7 row_mask:0xf bank_mask:0xf// 00000000908C: 0B5F5EFA FF015713
	v_mul_f32_dpp v176, v19, v176 row_newbcast:8 row_mask:0xf bank_mask:0xf// 000000009094: 0B6160FA FF015813
	v_mul_f32_dpp v177, v19, v177 row_newbcast:9 row_mask:0xf bank_mask:0xf// 00000000909C: 0B6362FA FF015913
	v_mul_f32_dpp v178, v19, v178 row_newbcast:10 row_mask:0xf bank_mask:0xf// 0000000090A4: 0B6564FA FF015A13
	v_mul_f32_dpp v179, v19, v179 row_newbcast:11 row_mask:0xf bank_mask:0xf// 0000000090AC: 0B6766FA FF015B13
	v_mul_f32_dpp v180, v19, v180 row_newbcast:8 row_mask:0xf bank_mask:0xf// 0000000090B4: 0B6968FA FF015813
	v_mul_f32_dpp v181, v19, v181 row_newbcast:9 row_mask:0xf bank_mask:0xf// 0000000090BC: 0B6B6AFA FF015913
	v_mul_f32_dpp v182, v19, v182 row_newbcast:10 row_mask:0xf bank_mask:0xf// 0000000090C4: 0B6D6CFA FF015A13
	v_mul_f32_dpp v183, v19, v183 row_newbcast:11 row_mask:0xf bank_mask:0xf// 0000000090CC: 0B6F6EFA FF015B13
	v_mul_f32_dpp v184, v19, v184 row_newbcast:12 row_mask:0xf bank_mask:0xf// 0000000090D4: 0B7170FA FF015C13
	v_mul_f32_dpp v185, v19, v185 row_newbcast:13 row_mask:0xf bank_mask:0xf// 0000000090DC: 0B7372FA FF015D13
	v_mul_f32_dpp v186, v19, v186 row_newbcast:14 row_mask:0xf bank_mask:0xf// 0000000090E4: 0B7574FA FF015E13
	v_mul_f32_dpp v187, v19, v187 row_newbcast:15 row_mask:0xf bank_mask:0xf// 0000000090EC: 0B7776FA FF015F13
	v_mul_f32_dpp v188, v19, v188 row_newbcast:12 row_mask:0xf bank_mask:0xf// 0000000090F4: 0B7978FA FF015C13
	v_mul_f32_dpp v189, v19, v189 row_newbcast:13 row_mask:0xf bank_mask:0xf// 0000000090FC: 0B7B7AFA FF015D13
	v_mul_f32_dpp v190, v19, v190 row_newbcast:14 row_mask:0xf bank_mask:0xf// 000000009104: 0B7D7CFA FF015E13
	v_mul_f32_dpp v191, v19, v191 row_newbcast:15 row_mask:0xf bank_mask:0xf// 00000000910C: 0B7F7EFA FF015F13
	buffer_load_dword v12, v5, s[16:19], 0 offen               // 000000009114: E0501000 80040C05
	v_mov_b32_e32 v22, 0x358637bd                              // 00000000911C: 7E2C02FF 358637BD
	v_mov_b32_e32 v23, 0x358637bd                              // 000000009124: 7E2E02FF 358637BD
	v_max3_f32 v22, |v128|, |v129|, v22                        // 00000000912C: D1D30316 045B0380
	v_max3_f32 v22, |v130|, |v131|, v22                        // 000000009134: D1D30316 045B0782
	v_max3_f32 v23, |v132|, |v133|, v23                        // 00000000913C: D1D30317 045F0B84
	v_max3_f32 v23, |v134|, |v135|, v23                        // 000000009144: D1D30317 045F0F86
	v_max3_f32 v22, |v136|, |v137|, v22                        // 00000000914C: D1D30316 045B1388
	v_max3_f32 v22, |v138|, |v139|, v22                        // 000000009154: D1D30316 045B178A
	v_max3_f32 v23, |v140|, |v141|, v23                        // 00000000915C: D1D30317 045F1B8C
	v_max3_f32 v23, |v142|, |v143|, v23                        // 000000009164: D1D30317 045F1F8E
	v_max3_f32 v22, |v144|, |v145|, v22                        // 00000000916C: D1D30316 045B2390
	v_max3_f32 v22, |v146|, |v147|, v22                        // 000000009174: D1D30316 045B2792
	v_max3_f32 v23, |v148|, |v149|, v23                        // 00000000917C: D1D30317 045F2B94
	v_max3_f32 v23, |v150|, |v151|, v23                        // 000000009184: D1D30317 045F2F96
	v_max3_f32 v22, |v152|, |v153|, v22                        // 00000000918C: D1D30316 045B3398
	v_max3_f32 v22, |v154|, |v155|, v22                        // 000000009194: D1D30316 045B379A
	v_max3_f32 v23, |v156|, |v157|, v23                        // 00000000919C: D1D30317 045F3B9C
	v_max3_f32 v23, |v158|, |v159|, v23                        // 0000000091A4: D1D30317 045F3F9E
	v_max3_f32 v22, |v160|, |v161|, v22                        // 0000000091AC: D1D30316 045B43A0
	v_max3_f32 v22, |v162|, |v163|, v22                        // 0000000091B4: D1D30316 045B47A2
	v_max3_f32 v23, |v164|, |v165|, v23                        // 0000000091BC: D1D30317 045F4BA4
	v_max3_f32 v23, |v166|, |v167|, v23                        // 0000000091C4: D1D30317 045F4FA6
	v_max3_f32 v22, |v168|, |v169|, v22                        // 0000000091CC: D1D30316 045B53A8
	v_max3_f32 v22, |v170|, |v171|, v22                        // 0000000091D4: D1D30316 045B57AA
	v_max3_f32 v23, |v172|, |v173|, v23                        // 0000000091DC: D1D30317 045F5BAC
	v_max3_f32 v23, |v174|, |v175|, v23                        // 0000000091E4: D1D30317 045F5FAE
	v_max3_f32 v22, |v176|, |v177|, v22                        // 0000000091EC: D1D30316 045B63B0
	v_max3_f32 v22, |v178|, |v179|, v22                        // 0000000091F4: D1D30316 045B67B2
	v_max3_f32 v23, |v180|, |v181|, v23                        // 0000000091FC: D1D30317 045F6BB4
	v_max3_f32 v23, |v182|, |v183|, v23                        // 000000009204: D1D30317 045F6FB6
	v_max3_f32 v22, |v184|, |v185|, v22                        // 00000000920C: D1D30316 045B73B8
	v_max3_f32 v22, |v186|, |v187|, v22                        // 000000009214: D1D30316 045B77BA
	v_max3_f32 v23, |v188|, |v189|, v23                        // 00000000921C: D1D30317 045F7BBC
	v_max3_f32 v23, |v190|, |v191|, v23                        // 000000009224: D1D30317 045F7FBE
	v_lshlrev_b32_e32 v54, 3, v0                               // 00000000922C: 246C0083
	s_mul_i32 s60, 0x200, s5                                   // 000000009230: 923C05FF 00000200
	v_add_u32_e32 v54, s60, v54                                // 000000009238: 686C6C3C
	ds_write_b64 v54, v[22:23] offset:16640                    // 00000000923C: D89A4100 00001636
	s_waitcnt lgkmcnt(0)                                       // 000000009244: BF8CC07F
	s_barrier                                                  // 000000009248: BF8A0000
	v_and_b32_e32 v54, 15, v0                                  // 00000000924C: 266C008F
	v_lshlrev_b32_e32 v54, 3, v54                              // 000000009250: 246C6C83
	ds_read_b64 v[96:97], v54 offset:16640                     // 000000009254: D8EC4100 60000036
	ds_read_b64 v[98:99], v54 offset:16768                     // 00000000925C: D8EC4180 62000036
	ds_read_b64 v[100:101], v54 offset:16896                   // 000000009264: D8EC4200 64000036
	ds_read_b64 v[102:103], v54 offset:17024                   // 00000000926C: D8EC4280 66000036
	ds_read_b64 v[104:105], v54 offset:17152                   // 000000009274: D8EC4300 68000036
	ds_read_b64 v[106:107], v54 offset:17280                   // 00000000927C: D8EC4380 6A000036
	ds_read_b64 v[108:109], v54 offset:17408                   // 000000009284: D8EC4400 6C000036
	ds_read_b64 v[110:111], v54 offset:17536                   // 00000000928C: D8EC4480 6E000036
	ds_read_b64 v[112:113], v54 offset:17664                   // 000000009294: D8EC4500 70000036
	ds_read_b64 v[114:115], v54 offset:17792                   // 00000000929C: D8EC4580 72000036
	ds_read_b64 v[116:117], v54 offset:17920                   // 0000000092A4: D8EC4600 74000036
	ds_read_b64 v[118:119], v54 offset:18048                   // 0000000092AC: D8EC4680 76000036
	ds_read_b64 v[120:121], v54 offset:18176                   // 0000000092B4: D8EC4700 78000036
	ds_read_b64 v[122:123], v54 offset:18304                   // 0000000092BC: D8EC4780 7A000036
	ds_read_b64 v[124:125], v54 offset:18432                   // 0000000092C4: D8EC4800 7C000036
	ds_read_b64 v[126:127], v54 offset:18560                   // 0000000092CC: D8EC4880 7E000036
	s_waitcnt lgkmcnt(0)                                       // 0000000092D4: BF8CC07F
	v_max3_f32 v22, |v96|, |v98|, v22                          // 0000000092D8: D1D30316 045AC560
	v_max3_f32 v23, |v97|, |v99|, v23                          // 0000000092E0: D1D30317 045EC761
	v_max3_f32 v22, |v100|, |v102|, v22                        // 0000000092E8: D1D30316 045ACD64
	v_max3_f32 v23, |v101|, |v103|, v23                        // 0000000092F0: D1D30317 045ECF65
	v_max3_f32 v22, |v104|, |v106|, v22                        // 0000000092F8: D1D30316 045AD568
	v_max3_f32 v23, |v105|, |v107|, v23                        // 000000009300: D1D30317 045ED769
	v_max3_f32 v22, |v108|, |v110|, v22                        // 000000009308: D1D30316 045ADD6C
	v_max3_f32 v23, |v109|, |v111|, v23                        // 000000009310: D1D30317 045EDF6D
	v_max3_f32 v22, |v112|, |v114|, v22                        // 000000009318: D1D30316 045AE570
	v_max3_f32 v23, |v113|, |v115|, v23                        // 000000009320: D1D30317 045EE771
	v_max3_f32 v22, |v116|, |v118|, v22                        // 000000009328: D1D30316 045AED74
	v_max3_f32 v23, |v117|, |v119|, v23                        // 000000009330: D1D30317 045EEF75
	v_max3_f32 v22, |v120|, |v122|, v22                        // 000000009338: D1D30316 045AF578
	v_max3_f32 v23, |v121|, |v123|, v23                        // 000000009340: D1D30317 045EF779
	v_max3_f32 v22, |v124|, |v126|, v22                        // 000000009348: D1D30316 045AFD7C
	v_max3_f32 v23, |v125|, |v127|, v23                        // 000000009350: D1D30317 045EFF7D
	v_rcp_f32_e32 v22, v22                                     // 000000009358: 7E2C4516
	v_rcp_f32_e32 v23, v23                                     // 00000000935C: 7E2E4517
	v_mul_f32_e32 v22, 0x42fe0000, v22                         // 000000009360: 0A2C2CFF 42FE0000
	v_mul_f32_e32 v23, 0x42fe0000, v23                         // 000000009368: 0A2E2EFF 42FE0000
	v_mul_f32_e32 v128, v22, v128                              // 000000009370: 0B010116
	v_mul_f32_e32 v129, v22, v129                              // 000000009374: 0B030316
	v_mul_f32_e32 v130, v22, v130                              // 000000009378: 0B050516
	v_mul_f32_e32 v131, v22, v131                              // 00000000937C: 0B070716
	v_cvt_i32_f32_e32 v128, v128                               // 000000009380: 7F001180
	v_cvt_i32_f32_e32 v129, v129                               // 000000009384: 7F021181
	v_cvt_i32_f32_e32 v130, v130                               // 000000009388: 7F041182
	v_cvt_i32_f32_e32 v131, v131                               // 00000000938C: 7F061183
	v_perm_b32 v128, v129, v128, s53                           // 000000009390: D1ED0080 00D70181
	v_perm_b32 v128, v130, v128, s54                           // 000000009398: D1ED0080 00DB0182
	v_perm_b32 v128, v131, v128, s55                           // 0000000093A0: D1ED0080 00DF0183
	v_mul_f32_e32 v132, v23, v132                              // 0000000093A8: 0B090917
	v_mul_f32_e32 v133, v23, v133                              // 0000000093AC: 0B0B0B17
	v_mul_f32_e32 v134, v23, v134                              // 0000000093B0: 0B0D0D17
	v_mul_f32_e32 v135, v23, v135                              // 0000000093B4: 0B0F0F17
	v_cvt_i32_f32_e32 v132, v132                               // 0000000093B8: 7F081184
	v_cvt_i32_f32_e32 v133, v133                               // 0000000093BC: 7F0A1185
	v_cvt_i32_f32_e32 v134, v134                               // 0000000093C0: 7F0C1186
	v_cvt_i32_f32_e32 v135, v135                               // 0000000093C4: 7F0E1187
	v_perm_b32 v129, v133, v132, s53                           // 0000000093C8: D1ED0081 00D70985
	v_perm_b32 v129, v134, v129, s54                           // 0000000093D0: D1ED0081 00DB0386
	v_perm_b32 v129, v135, v129, s55                           // 0000000093D8: D1ED0081 00DF0387
	v_mul_f32_e32 v136, v22, v136                              // 0000000093E0: 0B111116
	v_mul_f32_e32 v137, v22, v137                              // 0000000093E4: 0B131316
	v_mul_f32_e32 v138, v22, v138                              // 0000000093E8: 0B151516
	v_mul_f32_e32 v139, v22, v139                              // 0000000093EC: 0B171716
	v_cvt_i32_f32_e32 v136, v136                               // 0000000093F0: 7F101188
	v_cvt_i32_f32_e32 v137, v137                               // 0000000093F4: 7F121189
	v_cvt_i32_f32_e32 v138, v138                               // 0000000093F8: 7F14118A
	v_cvt_i32_f32_e32 v139, v139                               // 0000000093FC: 7F16118B
	v_perm_b32 v130, v137, v136, s53                           // 000000009400: D1ED0082 00D71189
	v_perm_b32 v130, v138, v130, s54                           // 000000009408: D1ED0082 00DB058A
	v_perm_b32 v130, v139, v130, s55                           // 000000009410: D1ED0082 00DF058B
	v_mul_f32_e32 v140, v23, v140                              // 000000009418: 0B191917
	v_mul_f32_e32 v141, v23, v141                              // 00000000941C: 0B1B1B17
	v_mul_f32_e32 v142, v23, v142                              // 000000009420: 0B1D1D17
	v_mul_f32_e32 v143, v23, v143                              // 000000009424: 0B1F1F17
	v_cvt_i32_f32_e32 v140, v140                               // 000000009428: 7F18118C
	v_cvt_i32_f32_e32 v141, v141                               // 00000000942C: 7F1A118D
	v_cvt_i32_f32_e32 v142, v142                               // 000000009430: 7F1C118E
	v_cvt_i32_f32_e32 v143, v143                               // 000000009434: 7F1E118F
	v_perm_b32 v131, v141, v140, s53                           // 000000009438: D1ED0083 00D7198D
	v_perm_b32 v131, v142, v131, s54                           // 000000009440: D1ED0083 00DB078E
	v_perm_b32 v131, v143, v131, s55                           // 000000009448: D1ED0083 00DF078F
	v_mul_f32_e32 v144, v22, v144                              // 000000009450: 0B212116
	v_mul_f32_e32 v145, v22, v145                              // 000000009454: 0B232316
	v_mul_f32_e32 v146, v22, v146                              // 000000009458: 0B252516
	v_mul_f32_e32 v147, v22, v147                              // 00000000945C: 0B272716
	v_cvt_i32_f32_e32 v144, v144                               // 000000009460: 7F201190
	v_cvt_i32_f32_e32 v145, v145                               // 000000009464: 7F221191
	v_cvt_i32_f32_e32 v146, v146                               // 000000009468: 7F241192
	v_cvt_i32_f32_e32 v147, v147                               // 00000000946C: 7F261193
	v_perm_b32 v132, v145, v144, s53                           // 000000009470: D1ED0084 00D72191
	v_perm_b32 v132, v146, v132, s54                           // 000000009478: D1ED0084 00DB0992
	v_perm_b32 v132, v147, v132, s55                           // 000000009480: D1ED0084 00DF0993
	v_mul_f32_e32 v148, v23, v148                              // 000000009488: 0B292917
	v_mul_f32_e32 v149, v23, v149                              // 00000000948C: 0B2B2B17
	v_mul_f32_e32 v150, v23, v150                              // 000000009490: 0B2D2D17
	v_mul_f32_e32 v151, v23, v151                              // 000000009494: 0B2F2F17
	v_cvt_i32_f32_e32 v148, v148                               // 000000009498: 7F281194
	v_cvt_i32_f32_e32 v149, v149                               // 00000000949C: 7F2A1195
	v_cvt_i32_f32_e32 v150, v150                               // 0000000094A0: 7F2C1196
	v_cvt_i32_f32_e32 v151, v151                               // 0000000094A4: 7F2E1197
	v_perm_b32 v133, v149, v148, s53                           // 0000000094A8: D1ED0085 00D72995
	v_perm_b32 v133, v150, v133, s54                           // 0000000094B0: D1ED0085 00DB0B96
	v_perm_b32 v133, v151, v133, s55                           // 0000000094B8: D1ED0085 00DF0B97
	v_mul_f32_e32 v152, v22, v152                              // 0000000094C0: 0B313116
	v_mul_f32_e32 v153, v22, v153                              // 0000000094C4: 0B333316
	v_mul_f32_e32 v154, v22, v154                              // 0000000094C8: 0B353516
	v_mul_f32_e32 v155, v22, v155                              // 0000000094CC: 0B373716
	v_cvt_i32_f32_e32 v152, v152                               // 0000000094D0: 7F301198
	v_cvt_i32_f32_e32 v153, v153                               // 0000000094D4: 7F321199
	v_cvt_i32_f32_e32 v154, v154                               // 0000000094D8: 7F34119A
	v_cvt_i32_f32_e32 v155, v155                               // 0000000094DC: 7F36119B
	v_perm_b32 v134, v153, v152, s53                           // 0000000094E0: D1ED0086 00D73199
	v_perm_b32 v134, v154, v134, s54                           // 0000000094E8: D1ED0086 00DB0D9A
	v_perm_b32 v134, v155, v134, s55                           // 0000000094F0: D1ED0086 00DF0D9B
	v_mul_f32_e32 v156, v23, v156                              // 0000000094F8: 0B393917
	v_mul_f32_e32 v157, v23, v157                              // 0000000094FC: 0B3B3B17
	v_mul_f32_e32 v158, v23, v158                              // 000000009500: 0B3D3D17
	v_mul_f32_e32 v159, v23, v159                              // 000000009504: 0B3F3F17
	v_cvt_i32_f32_e32 v156, v156                               // 000000009508: 7F38119C
	v_cvt_i32_f32_e32 v157, v157                               // 00000000950C: 7F3A119D
	v_cvt_i32_f32_e32 v158, v158                               // 000000009510: 7F3C119E
	v_cvt_i32_f32_e32 v159, v159                               // 000000009514: 7F3E119F
	v_perm_b32 v135, v157, v156, s53                           // 000000009518: D1ED0087 00D7399D
	v_perm_b32 v135, v158, v135, s54                           // 000000009520: D1ED0087 00DB0F9E
	v_perm_b32 v135, v159, v135, s55                           // 000000009528: D1ED0087 00DF0F9F
	v_mul_f32_e32 v160, v22, v160                              // 000000009530: 0B414116
	v_mul_f32_e32 v161, v22, v161                              // 000000009534: 0B434316
	v_mul_f32_e32 v162, v22, v162                              // 000000009538: 0B454516
	v_mul_f32_e32 v163, v22, v163                              // 00000000953C: 0B474716
	v_cvt_i32_f32_e32 v160, v160                               // 000000009540: 7F4011A0
	v_cvt_i32_f32_e32 v161, v161                               // 000000009544: 7F4211A1
	v_cvt_i32_f32_e32 v162, v162                               // 000000009548: 7F4411A2
	v_cvt_i32_f32_e32 v163, v163                               // 00000000954C: 7F4611A3
	v_perm_b32 v136, v161, v160, s53                           // 000000009550: D1ED0088 00D741A1
	v_perm_b32 v136, v162, v136, s54                           // 000000009558: D1ED0088 00DB11A2
	v_perm_b32 v136, v163, v136, s55                           // 000000009560: D1ED0088 00DF11A3
	v_mul_f32_e32 v164, v23, v164                              // 000000009568: 0B494917
	v_mul_f32_e32 v165, v23, v165                              // 00000000956C: 0B4B4B17
	v_mul_f32_e32 v166, v23, v166                              // 000000009570: 0B4D4D17
	v_mul_f32_e32 v167, v23, v167                              // 000000009574: 0B4F4F17
	v_cvt_i32_f32_e32 v164, v164                               // 000000009578: 7F4811A4
	v_cvt_i32_f32_e32 v165, v165                               // 00000000957C: 7F4A11A5
	v_cvt_i32_f32_e32 v166, v166                               // 000000009580: 7F4C11A6
	v_cvt_i32_f32_e32 v167, v167                               // 000000009584: 7F4E11A7
	v_perm_b32 v137, v165, v164, s53                           // 000000009588: D1ED0089 00D749A5
	v_perm_b32 v137, v166, v137, s54                           // 000000009590: D1ED0089 00DB13A6
	v_perm_b32 v137, v167, v137, s55                           // 000000009598: D1ED0089 00DF13A7
	v_mul_f32_e32 v168, v22, v168                              // 0000000095A0: 0B515116
	v_mul_f32_e32 v169, v22, v169                              // 0000000095A4: 0B535316
	v_mul_f32_e32 v170, v22, v170                              // 0000000095A8: 0B555516
	v_mul_f32_e32 v171, v22, v171                              // 0000000095AC: 0B575716
	v_cvt_i32_f32_e32 v168, v168                               // 0000000095B0: 7F5011A8
	v_cvt_i32_f32_e32 v169, v169                               // 0000000095B4: 7F5211A9
	v_cvt_i32_f32_e32 v170, v170                               // 0000000095B8: 7F5411AA
	v_cvt_i32_f32_e32 v171, v171                               // 0000000095BC: 7F5611AB
	v_perm_b32 v138, v169, v168, s53                           // 0000000095C0: D1ED008A 00D751A9
	v_perm_b32 v138, v170, v138, s54                           // 0000000095C8: D1ED008A 00DB15AA
	v_perm_b32 v138, v171, v138, s55                           // 0000000095D0: D1ED008A 00DF15AB
	v_mul_f32_e32 v172, v23, v172                              // 0000000095D8: 0B595917
	v_mul_f32_e32 v173, v23, v173                              // 0000000095DC: 0B5B5B17
	v_mul_f32_e32 v174, v23, v174                              // 0000000095E0: 0B5D5D17
	v_mul_f32_e32 v175, v23, v175                              // 0000000095E4: 0B5F5F17
	v_cvt_i32_f32_e32 v172, v172                               // 0000000095E8: 7F5811AC
	v_cvt_i32_f32_e32 v173, v173                               // 0000000095EC: 7F5A11AD
	v_cvt_i32_f32_e32 v174, v174                               // 0000000095F0: 7F5C11AE
	v_cvt_i32_f32_e32 v175, v175                               // 0000000095F4: 7F5E11AF
	v_perm_b32 v139, v173, v172, s53                           // 0000000095F8: D1ED008B 00D759AD
	v_perm_b32 v139, v174, v139, s54                           // 000000009600: D1ED008B 00DB17AE
	v_perm_b32 v139, v175, v139, s55                           // 000000009608: D1ED008B 00DF17AF
	v_mul_f32_e32 v176, v22, v176                              // 000000009610: 0B616116
	v_mul_f32_e32 v177, v22, v177                              // 000000009614: 0B636316
	v_mul_f32_e32 v178, v22, v178                              // 000000009618: 0B656516
	v_mul_f32_e32 v179, v22, v179                              // 00000000961C: 0B676716
	v_cvt_i32_f32_e32 v176, v176                               // 000000009620: 7F6011B0
	v_cvt_i32_f32_e32 v177, v177                               // 000000009624: 7F6211B1
	v_cvt_i32_f32_e32 v178, v178                               // 000000009628: 7F6411B2
	v_cvt_i32_f32_e32 v179, v179                               // 00000000962C: 7F6611B3
	v_perm_b32 v140, v177, v176, s53                           // 000000009630: D1ED008C 00D761B1
	v_perm_b32 v140, v178, v140, s54                           // 000000009638: D1ED008C 00DB19B2
	v_perm_b32 v140, v179, v140, s55                           // 000000009640: D1ED008C 00DF19B3
	v_mul_f32_e32 v180, v23, v180                              // 000000009648: 0B696917
	v_mul_f32_e32 v181, v23, v181                              // 00000000964C: 0B6B6B17
	v_mul_f32_e32 v182, v23, v182                              // 000000009650: 0B6D6D17
	v_mul_f32_e32 v183, v23, v183                              // 000000009654: 0B6F6F17
	v_cvt_i32_f32_e32 v180, v180                               // 000000009658: 7F6811B4
	v_cvt_i32_f32_e32 v181, v181                               // 00000000965C: 7F6A11B5
	v_cvt_i32_f32_e32 v182, v182                               // 000000009660: 7F6C11B6
	v_cvt_i32_f32_e32 v183, v183                               // 000000009664: 7F6E11B7
	v_perm_b32 v141, v181, v180, s53                           // 000000009668: D1ED008D 00D769B5
	v_perm_b32 v141, v182, v141, s54                           // 000000009670: D1ED008D 00DB1BB6
	v_perm_b32 v141, v183, v141, s55                           // 000000009678: D1ED008D 00DF1BB7
	v_mul_f32_e32 v184, v22, v184                              // 000000009680: 0B717116
	v_mul_f32_e32 v185, v22, v185                              // 000000009684: 0B737316
	v_mul_f32_e32 v186, v22, v186                              // 000000009688: 0B757516
	v_mul_f32_e32 v187, v22, v187                              // 00000000968C: 0B777716
	v_cvt_i32_f32_e32 v184, v184                               // 000000009690: 7F7011B8
	v_cvt_i32_f32_e32 v185, v185                               // 000000009694: 7F7211B9
	v_cvt_i32_f32_e32 v186, v186                               // 000000009698: 7F7411BA
	v_cvt_i32_f32_e32 v187, v187                               // 00000000969C: 7F7611BB
	v_perm_b32 v142, v185, v184, s53                           // 0000000096A0: D1ED008E 00D771B9
	v_perm_b32 v142, v186, v142, s54                           // 0000000096A8: D1ED008E 00DB1DBA
	v_perm_b32 v142, v187, v142, s55                           // 0000000096B0: D1ED008E 00DF1DBB
	v_mul_f32_e32 v188, v23, v188                              // 0000000096B8: 0B797917
	v_mul_f32_e32 v189, v23, v189                              // 0000000096BC: 0B7B7B17
	v_mul_f32_e32 v190, v23, v190                              // 0000000096C0: 0B7D7D17
	v_mul_f32_e32 v191, v23, v191                              // 0000000096C4: 0B7F7F17
	v_cvt_i32_f32_e32 v188, v188                               // 0000000096C8: 7F7811BC
	v_cvt_i32_f32_e32 v189, v189                               // 0000000096CC: 7F7A11BD
	v_cvt_i32_f32_e32 v190, v190                               // 0000000096D0: 7F7C11BE
	v_cvt_i32_f32_e32 v191, v191                               // 0000000096D4: 7F7E11BF
	v_perm_b32 v143, v189, v188, s53                           // 0000000096D8: D1ED008F 00D779BD
	v_perm_b32 v143, v190, v143, s54                           // 0000000096E0: D1ED008F 00DB1FBE
	v_perm_b32 v143, v191, v143, s55                           // 0000000096E8: D1ED008F 00DF1FBF
	v_rcp_f32_e32 v24, v22                                     // 0000000096F0: 7E304516
	v_rcp_f32_e32 v25, v23                                     // 0000000096F4: 7E324517
	v_lshrrev_b32_e32 v54, 5, v0                               // 0000000096F8: 206C0085
	v_lshlrev_b32_e32 v55, 5, v54                              // 0000000096FC: 246E6C85
	v_and_b32_e32 v54, 31, v0                                  // 000000009700: 266C009F
	v_lshrrev_b32_e32 v56, 4, v54                              // 000000009704: 20706C84
	v_add_u32_e32 v55, v56, v55                                // 000000009708: 686E6F38
	v_and_b32_e32 v54, 15, v0                                  // 00000000970C: 266C008F
	v_lshlrev_b32_e32 v54, 1, v54                              // 000000009710: 246C6C81
	v_add_u32_e32 v55, v54, v55                                // 000000009714: 686E6F36
	v_lshlrev_b32_e32 v54, 2, v55                              // 000000009718: 246C6E82
	s_mul_i32 s60, 0x100, s5                                   // 00000000971C: 923C05FF 00000100
	v_add_u32_e64 v54, v54, s60                                // 000000009724: D1340036 00007936
	ds_write_b32 v54, v128 offset:18688                        // 00000000972C: D81A4900 00008036
	ds_write_b32 v54, v129 offset:26880                        // 000000009734: D81A6900 00008136
	ds_write_b32 v54, v130 offset:19712                        // 00000000973C: D81A4D00 00008236
	ds_write_b32 v54, v131 offset:27904                        // 000000009744: D81A6D00 00008336
	ds_write_b32 v54, v132 offset:20736                        // 00000000974C: D81A5100 00008436
	ds_write_b32 v54, v133 offset:28928                        // 000000009754: D81A7100 00008536
	ds_write_b32 v54, v134 offset:21760                        // 00000000975C: D81A5500 00008636
	ds_write_b32 v54, v135 offset:29952                        // 000000009764: D81A7500 00008736
	ds_write_b32 v54, v136 offset:22784                        // 00000000976C: D81A5900 00008836
	ds_write_b32 v54, v137 offset:30976                        // 000000009774: D81A7900 00008936
	ds_write_b32 v54, v138 offset:23808                        // 00000000977C: D81A5D00 00008A36
	ds_write_b32 v54, v139 offset:32000                        // 000000009784: D81A7D00 00008B36
	ds_write_b32 v54, v140 offset:24832                        // 00000000978C: D81A6100 00008C36
	ds_write_b32 v54, v141 offset:33024                        // 000000009794: D81A8100 00008D36
	ds_write_b32 v54, v142 offset:25856                        // 00000000979C: D81A6500 00008E36
	ds_write_b32 v54, v143 offset:34048                        // 0000000097A4: D81A8500 00008F36
	s_waitcnt lgkmcnt(0)                                       // 0000000097AC: BF8CC07F
	s_barrier                                                  // 0000000097B0: BF8A0000
	v_lshrrev_b32_e32 v54, 4, v0                               // 0000000097B4: 206C0084
	v_lshlrev_b32_e32 v55, 6, v54                              // 0000000097B8: 246E6C86
	v_and_b32_e32 v54, 15, v0                                  // 0000000097BC: 266C008F
	v_lshlrev_b32_e32 v54, 1, v54                              // 0000000097C0: 246C6C81
	v_add_u32_e32 v55, v54, v55                                // 0000000097C4: 686E6F36
	v_lshlrev_b32_e32 v54, 2, v55                              // 0000000097C8: 246C6E82
	ds_read_b64 v[128:129], v54 offset:18688                   // 0000000097CC: D8EC4900 80000036
	ds_read_b64 v[130:131], v54 offset:18816                   // 0000000097D4: D8EC4980 82000036
	ds_read_b64 v[132:133], v54 offset:19712                   // 0000000097DC: D8EC4D00 84000036
	ds_read_b64 v[134:135], v54 offset:19840                   // 0000000097E4: D8EC4D80 86000036
	ds_read_b64 v[136:137], v54 offset:20736                   // 0000000097EC: D8EC5100 88000036
	ds_read_b64 v[138:139], v54 offset:20864                   // 0000000097F4: D8EC5180 8A000036
	ds_read_b64 v[140:141], v54 offset:21760                   // 0000000097FC: D8EC5500 8C000036
	ds_read_b64 v[142:143], v54 offset:21888                   // 000000009804: D8EC5580 8E000036
	ds_read_b64 v[144:145], v54 offset:22784                   // 00000000980C: D8EC5900 90000036
	ds_read_b64 v[146:147], v54 offset:22912                   // 000000009814: D8EC5980 92000036
	ds_read_b64 v[148:149], v54 offset:23808                   // 00000000981C: D8EC5D00 94000036
	ds_read_b64 v[150:151], v54 offset:23936                   // 000000009824: D8EC5D80 96000036
	ds_read_b64 v[152:153], v54 offset:24832                   // 00000000982C: D8EC6100 98000036
	ds_read_b64 v[154:155], v54 offset:24960                   // 000000009834: D8EC6180 9A000036
	ds_read_b64 v[156:157], v54 offset:25856                   // 00000000983C: D8EC6500 9C000036
	ds_read_b64 v[158:159], v54 offset:25984                   // 000000009844: D8EC6580 9E000036
	ds_read_b64 v[160:161], v54 offset:26880                   // 00000000984C: D8EC6900 A0000036
	ds_read_b64 v[162:163], v54 offset:27008                   // 000000009854: D8EC6980 A2000036
	ds_read_b64 v[164:165], v54 offset:27904                   // 00000000985C: D8EC6D00 A4000036
	ds_read_b64 v[166:167], v54 offset:28032                   // 000000009864: D8EC6D80 A6000036
	ds_read_b64 v[168:169], v54 offset:28928                   // 00000000986C: D8EC7100 A8000036
	ds_read_b64 v[170:171], v54 offset:29056                   // 000000009874: D8EC7180 AA000036
	ds_read_b64 v[172:173], v54 offset:29952                   // 00000000987C: D8EC7500 AC000036
	ds_read_b64 v[174:175], v54 offset:30080                   // 000000009884: D8EC7580 AE000036
	ds_read_b64 v[176:177], v54 offset:30976                   // 00000000988C: D8EC7900 B0000036
	ds_read_b64 v[178:179], v54 offset:31104                   // 000000009894: D8EC7980 B2000036
	ds_read_b64 v[180:181], v54 offset:32000                   // 00000000989C: D8EC7D00 B4000036
	ds_read_b64 v[182:183], v54 offset:32128                   // 0000000098A4: D8EC7D80 B6000036
	ds_read_b64 v[184:185], v54 offset:33024                   // 0000000098AC: D8EC8100 B8000036
	ds_read_b64 v[186:187], v54 offset:33152                   // 0000000098B4: D8EC8180 BA000036
	ds_read_b64 v[188:189], v54 offset:34048                   // 0000000098BC: D8EC8500 BC000036
	ds_read_b64 v[190:191], v54 offset:34176                   // 0000000098C4: D8EC8580 BE000036
	s_add_u32 s12, s56, s12                                    // 0000000098CC: 800C0C38
	s_addc_u32 s13, 0, s13                                     // 0000000098D0: 820D0D80
	s_add_u32 s16, s79, s16                                    // 0000000098D4: 8010104F
	s_addc_u32 s17, 0, s17                                     // 0000000098D8: 82111180
	s_waitcnt lgkmcnt(0)                                       // 0000000098DC: BF8CC07F
	s_barrier                                                  // 0000000098E0: BF8A0000
	v_mov_b32_e32 v192, 0                                      // 0000000098E4: 7F800280
	v_mov_b32_e32 v224, 0                                      // 0000000098E8: 7FC00280
	v_mov_b32_e32 v193, 0                                      // 0000000098EC: 7F820280
	v_mov_b32_e32 v225, 0                                      // 0000000098F0: 7FC20280
	v_mov_b32_e32 v194, 0                                      // 0000000098F4: 7F840280
	v_mov_b32_e32 v226, 0                                      // 0000000098F8: 7FC40280
	v_mov_b32_e32 v195, 0                                      // 0000000098FC: 7F860280
	v_mov_b32_e32 v227, 0                                      // 000000009900: 7FC60280
	v_mov_b32_e32 v196, 0                                      // 000000009904: 7F880280
	v_mov_b32_e32 v228, 0                                      // 000000009908: 7FC80280
	v_mov_b32_e32 v197, 0                                      // 00000000990C: 7F8A0280
	v_mov_b32_e32 v229, 0                                      // 000000009910: 7FCA0280
	v_mov_b32_e32 v198, 0                                      // 000000009914: 7F8C0280
	v_mov_b32_e32 v230, 0                                      // 000000009918: 7FCC0280
	v_mov_b32_e32 v199, 0                                      // 00000000991C: 7F8E0280
	v_mov_b32_e32 v231, 0                                      // 000000009920: 7FCE0280
	v_mov_b32_e32 v200, 0                                      // 000000009924: 7F900280
	v_mov_b32_e32 v232, 0                                      // 000000009928: 7FD00280
	v_mov_b32_e32 v201, 0                                      // 00000000992C: 7F920280
	v_mov_b32_e32 v233, 0                                      // 000000009930: 7FD20280
	v_mov_b32_e32 v202, 0                                      // 000000009934: 7F940280
	v_mov_b32_e32 v234, 0                                      // 000000009938: 7FD40280
	v_mov_b32_e32 v203, 0                                      // 00000000993C: 7F960280
	v_mov_b32_e32 v235, 0                                      // 000000009940: 7FD60280
	v_mov_b32_e32 v204, 0                                      // 000000009944: 7F980280
	v_mov_b32_e32 v236, 0                                      // 000000009948: 7FD80280
	v_mov_b32_e32 v205, 0                                      // 00000000994C: 7F9A0280
	v_mov_b32_e32 v237, 0                                      // 000000009950: 7FDA0280
	v_mov_b32_e32 v206, 0                                      // 000000009954: 7F9C0280
	v_mov_b32_e32 v238, 0                                      // 000000009958: 7FDC0280
	v_mov_b32_e32 v207, 0                                      // 00000000995C: 7F9E0280
	v_mov_b32_e32 v239, 0                                      // 000000009960: 7FDE0280
	ds_write_b64 v3, v[192:193] offset:18688                   // 000000009964: D89A4900 0000C003
	ds_write_b64 v3, v[194:195] offset:27392                   // 00000000996C: D89A6B00 0000C203
	ds_write_b64 v3, v[196:197] offset:20864                   // 000000009974: D89A5180 0000C403
	ds_write_b64 v3, v[198:199] offset:29568                   // 00000000997C: D89A7380 0000C603
	ds_write_b64 v3, v[200:201] offset:23040                   // 000000009984: D89A5A00 0000C803
	ds_write_b64 v3, v[202:203] offset:31744                   // 00000000998C: D89A7C00 0000CA03
	ds_write_b64 v3, v[204:205] offset:25216                   // 000000009994: D89A6280 0000CC03
	ds_write_b64 v3, v[206:207] offset:33920                   // 00000000999C: D89A8480 0000CE03
	s_mov_b32 s80, 0                                           // 0000000099A4: BED00080
	s_waitcnt vmcnt(0) expcnt(0) lgkmcnt(0)                    // 0000000099A8: BF8C0000

00000000000099ac <label_1AEB>:
	s_waitcnt vmcnt(25) lgkmcnt(0)                             // 0000000099AC: BF8C4079
	s_barrier                                                  // 0000000099B0: BF8A0000
	v_mfma_i32_16x16x32_i8 v[192:195], a[0:1], v[128:129], 0   // 0000000099B4: D3D700C0 0A030100
	buffer_load_dwordx4 a[128:131], v42, s[12:15], 0 offen     // 0000000099BC: E05C1000 8083802A
	v_mfma_i32_16x16x32_i8 v[192:195], a[2:3], v[130:131], v[192:195]// 0000000099C4: D3D700C0 0F030502
	ds_read_b32 v64, v4 offset:18688                           // 0000000099CC: D86C4900 40000004
	ds_read_b32 v65, v4 offset:23040                           // 0000000099D4: D86C5A00 41000004
	v_mfma_i32_16x16x32_i8 v[192:195], a[4:5], v[132:133], v[192:195]// 0000000099DC: D3D700C0 0F030904
	v_mfma_i32_16x16x32_i8 v[192:195], a[6:7], v[134:135], v[192:195]// 0000000099E4: D3D700C0 0F030D06
	ds_read_b32 v66, v4 offset:18720                           // 0000000099EC: D86C4920 42000004
	ds_read_b32 v67, v4 offset:23072                           // 0000000099F4: D86C5A20 43000004
	v_mfma_i32_16x16x32_i8 v[192:195], a[8:9], v[136:137], v[192:195]// 0000000099FC: D3D700C0 0F031108
	buffer_load_dwordx4 a[132:135], v42, s[12:15], 0 offen offset:1024// 000000009A04: E05C1400 8083842A
	v_mfma_i32_16x16x32_i8 v[192:195], a[10:11], v[138:139], v[192:195]// 000000009A0C: D3D700C0 0F03150A
	ds_read_b32 v68, v4 offset:18752                           // 000000009A14: D86C4940 44000004
	ds_read_b32 v69, v4 offset:23104                           // 000000009A1C: D86C5A40 45000004
	v_mfma_i32_16x16x32_i8 v[192:195], a[12:13], v[140:141], v[192:195]// 000000009A24: D3D700C0 0F03190C
	v_mfma_i32_16x16x32_i8 v[192:195], a[14:15], v[142:143], v[192:195]// 000000009A2C: D3D700C0 0F031D0E
	ds_read_b32 v70, v4 offset:18784                           // 000000009A34: D86C4960 46000004
	ds_read_b32 v71, v4 offset:23136                           // 000000009A3C: D86C5A60 47000004
	v_mfma_i32_16x16x32_i8 v[196:199], a[0:1], v[160:161], 0   // 000000009A44: D3D700C4 0A034100
	buffer_load_dwordx4 a[136:139], v42, s[12:15], 0 offen offset:2048// 000000009A4C: E05C1800 8083882A
	v_mfma_i32_16x16x32_i8 v[196:199], a[2:3], v[162:163], v[196:199]// 000000009A54: D3D700C4 0F134502
	ds_read_b32 v72, v4 offset:27392                           // 000000009A5C: D86C6B00 48000004
	ds_read_b32 v73, v4 offset:31744                           // 000000009A64: D86C7C00 49000004
	v_mfma_i32_16x16x32_i8 v[196:199], a[4:5], v[164:165], v[196:199]// 000000009A6C: D3D700C4 0F134904
	v_mfma_i32_16x16x32_i8 v[196:199], a[6:7], v[166:167], v[196:199]// 000000009A74: D3D700C4 0F134D06
	ds_read_b32 v74, v4 offset:27424                           // 000000009A7C: D86C6B20 4A000004
	ds_read_b32 v75, v4 offset:31776                           // 000000009A84: D86C7C20 4B000004
	v_mfma_i32_16x16x32_i8 v[196:199], a[8:9], v[168:169], v[196:199]// 000000009A8C: D3D700C4 0F135108
	buffer_load_dwordx4 a[140:143], v42, s[12:15], 0 offen offset:3072// 000000009A94: E05C1C00 80838C2A
	v_mfma_i32_16x16x32_i8 v[196:199], a[10:11], v[170:171], v[196:199]// 000000009A9C: D3D700C4 0F13550A
	ds_read_b32 v76, v4 offset:27456                           // 000000009AA4: D86C6B40 4C000004
	ds_read_b32 v77, v4 offset:31808                           // 000000009AAC: D86C7C40 4D000004
	v_mfma_i32_16x16x32_i8 v[196:199], a[12:13], v[172:173], v[196:199]// 000000009AB4: D3D700C4 0F13590C
	v_mfma_i32_16x16x32_i8 v[196:199], a[14:15], v[174:175], v[196:199]// 000000009ABC: D3D700C4 0F135D0E
	ds_read_b32 v78, v4 offset:27488                           // 000000009AC4: D86C6B60 4E000004
	ds_read_b32 v79, v4 offset:31840                           // 000000009ACC: D86C7C60 4F000004
	v_mfma_i32_16x16x32_i8 v[200:203], a[16:17], v[128:129], 0 // 000000009AD4: D3D700C8 0A030110
	buffer_load_dwordx4 a[144:147], v43, s[12:15], 0 offen     // 000000009ADC: E05C1000 8083902B
	v_mfma_i32_16x16x32_i8 v[200:203], a[18:19], v[130:131], v[200:203]// 000000009AE4: D3D700C8 0F230512
	v_mfma_i32_16x16x32_i8 v[200:203], a[20:21], v[132:133], v[200:203]// 000000009AEC: D3D700C8 0F230914
	v_mfma_i32_16x16x32_i8 v[200:203], a[22:23], v[134:135], v[200:203]// 000000009AF4: D3D700C8 0F230D16
	v_mfma_i32_16x16x32_i8 v[200:203], a[24:25], v[136:137], v[200:203]// 000000009AFC: D3D700C8 0F231118
	buffer_load_dwordx4 a[148:151], v43, s[12:15], 0 offen offset:1024// 000000009B04: E05C1400 8083942B
	v_mfma_i32_16x16x32_i8 v[200:203], a[26:27], v[138:139], v[200:203]// 000000009B0C: D3D700C8 0F23151A
	v_mfma_i32_16x16x32_i8 v[200:203], a[28:29], v[140:141], v[200:203]// 000000009B14: D3D700C8 0F23191C
	v_mfma_i32_16x16x32_i8 v[200:203], a[30:31], v[142:143], v[200:203]// 000000009B1C: D3D700C8 0F231D1E
	v_mfma_i32_16x16x32_i8 v[204:207], a[16:17], v[160:161], 0 // 000000009B24: D3D700CC 0A034110
	buffer_load_dwordx4 a[152:155], v43, s[12:15], 0 offen offset:2048// 000000009B2C: E05C1800 8083982B
	v_mfma_i32_16x16x32_i8 v[204:207], a[18:19], v[162:163], v[204:207]// 000000009B34: D3D700CC 0F334512
	v_mfma_i32_16x16x32_i8 v[204:207], a[20:21], v[164:165], v[204:207]// 000000009B3C: D3D700CC 0F334914
	v_mfma_i32_16x16x32_i8 v[204:207], a[22:23], v[166:167], v[204:207]// 000000009B44: D3D700CC 0F334D16
	v_mfma_i32_16x16x32_i8 v[204:207], a[24:25], v[168:169], v[204:207]// 000000009B4C: D3D700CC 0F335118
	buffer_load_dwordx4 a[156:159], v43, s[12:15], 0 offen offset:3072// 000000009B54: E05C1C00 80839C2B
	v_mfma_i32_16x16x32_i8 v[204:207], a[26:27], v[170:171], v[204:207]// 000000009B5C: D3D700CC 0F33551A
	v_mfma_i32_16x16x32_i8 v[204:207], a[28:29], v[172:173], v[204:207]// 000000009B64: D3D700CC 0F33591C
	v_mfma_i32_16x16x32_i8 v[204:207], a[30:31], v[174:175], v[204:207]// 000000009B6C: D3D700CC 0F335D1E
	s_waitcnt vmcnt(25)                                        // 000000009B74: BF8C4F79
	v_mfma_i32_16x16x32_i8 v[208:211], a[32:33], v[128:129], 0 // 000000009B78: D3D700D0 0A030120
	buffer_load_dwordx4 a[160:163], v44, s[12:15], 0 offen     // 000000009B80: E05C1000 8083A02C
	v_mfma_i32_16x16x32_i8 v[208:211], a[34:35], v[130:131], v[208:211]// 000000009B88: D3D700D0 0F430522
	v_mfma_i32_16x16x32_i8 v[208:211], a[36:37], v[132:133], v[208:211]// 000000009B90: D3D700D0 0F430924
	v_mfma_i32_16x16x32_i8 v[208:211], a[38:39], v[134:135], v[208:211]// 000000009B98: D3D700D0 0F430D26
	v_mfma_i32_16x16x32_i8 v[208:211], a[40:41], v[136:137], v[208:211]// 000000009BA0: D3D700D0 0F431128
	buffer_load_dwordx4 a[164:167], v44, s[12:15], 0 offen offset:1024// 000000009BA8: E05C1400 8083A42C
	v_mfma_i32_16x16x32_i8 v[208:211], a[42:43], v[138:139], v[208:211]// 000000009BB0: D3D700D0 0F43152A
	v_mfma_i32_16x16x32_i8 v[208:211], a[44:45], v[140:141], v[208:211]// 000000009BB8: D3D700D0 0F43192C
	v_mfma_i32_16x16x32_i8 v[208:211], a[46:47], v[142:143], v[208:211]// 000000009BC0: D3D700D0 0F431D2E
	v_mfma_i32_16x16x32_i8 v[212:215], a[32:33], v[160:161], 0 // 000000009BC8: D3D700D4 0A034120
	buffer_load_dwordx4 a[168:171], v44, s[12:15], 0 offen offset:2048// 000000009BD0: E05C1800 8083A82C
	v_mfma_i32_16x16x32_i8 v[212:215], a[34:35], v[162:163], v[212:215]// 000000009BD8: D3D700D4 0F534522
	v_mfma_i32_16x16x32_i8 v[212:215], a[36:37], v[164:165], v[212:215]// 000000009BE0: D3D700D4 0F534924
	v_mfma_i32_16x16x32_i8 v[212:215], a[38:39], v[166:167], v[212:215]// 000000009BE8: D3D700D4 0F534D26
	v_mfma_i32_16x16x32_i8 v[212:215], a[40:41], v[168:169], v[212:215]// 000000009BF0: D3D700D4 0F535128
	buffer_load_dwordx4 a[172:175], v44, s[12:15], 0 offen offset:3072// 000000009BF8: E05C1C00 8083AC2C
	v_mfma_i32_16x16x32_i8 v[212:215], a[42:43], v[170:171], v[212:215]// 000000009C00: D3D700D4 0F53552A
	v_mfma_i32_16x16x32_i8 v[212:215], a[44:45], v[172:173], v[212:215]// 000000009C08: D3D700D4 0F53592C
	v_mfma_i32_16x16x32_i8 v[212:215], a[46:47], v[174:175], v[212:215]// 000000009C10: D3D700D4 0F535D2E
	v_mfma_i32_16x16x32_i8 v[216:219], a[48:49], v[128:129], 0 // 000000009C18: D3D700D8 0A030130
	buffer_load_dwordx4 a[176:179], v45, s[12:15], 0 offen     // 000000009C20: E05C1000 8083B02D
	v_mfma_i32_16x16x32_i8 v[216:219], a[50:51], v[130:131], v[216:219]// 000000009C28: D3D700D8 0F630532
	v_mfma_i32_16x16x32_i8 v[216:219], a[52:53], v[132:133], v[216:219]// 000000009C30: D3D700D8 0F630934
	v_mfma_i32_16x16x32_i8 v[216:219], a[54:55], v[134:135], v[216:219]// 000000009C38: D3D700D8 0F630D36
	v_mfma_i32_16x16x32_i8 v[216:219], a[56:57], v[136:137], v[216:219]// 000000009C40: D3D700D8 0F631138
	buffer_load_dwordx4 a[180:183], v45, s[12:15], 0 offen offset:1024// 000000009C48: E05C1400 8083B42D
	v_mfma_i32_16x16x32_i8 v[216:219], a[58:59], v[138:139], v[216:219]// 000000009C50: D3D700D8 0F63153A
	v_mfma_i32_16x16x32_i8 v[216:219], a[60:61], v[140:141], v[216:219]// 000000009C58: D3D700D8 0F63193C
	v_mfma_i32_16x16x32_i8 v[216:219], a[62:63], v[142:143], v[216:219]// 000000009C60: D3D700D8 0F631D3E
	v_mfma_i32_16x16x32_i8 v[220:223], a[48:49], v[160:161], 0 // 000000009C68: D3D700DC 0A034130
	buffer_load_dwordx4 a[184:187], v45, s[12:15], 0 offen offset:2048// 000000009C70: E05C1800 8083B82D
	v_mfma_i32_16x16x32_i8 v[220:223], a[50:51], v[162:163], v[220:223]// 000000009C78: D3D700DC 0F734532
	v_mfma_i32_16x16x32_i8 v[220:223], a[52:53], v[164:165], v[220:223]// 000000009C80: D3D700DC 0F734934
	v_mfma_i32_16x16x32_i8 v[220:223], a[54:55], v[166:167], v[220:223]// 000000009C88: D3D700DC 0F734D36
	v_mfma_i32_16x16x32_i8 v[220:223], a[56:57], v[168:169], v[220:223]// 000000009C90: D3D700DC 0F735138
	buffer_load_dwordx4 a[188:191], v45, s[12:15], 0 offen offset:3072// 000000009C98: E05C1C00 8083BC2D
	s_add_u32 s12, s78, s12                                    // 000000009CA0: 800C0C4E
	s_addc_u32 s13, 0, s13                                     // 000000009CA4: 820D0D80
	v_mfma_i32_16x16x32_i8 v[220:223], a[58:59], v[170:171], v[220:223]// 000000009CA8: D3D700DC 0F73553A
	v_mfma_i32_16x16x32_i8 v[220:223], a[60:61], v[172:173], v[220:223]// 000000009CB0: D3D700DC 0F73593C
	v_mfma_i32_16x16x32_i8 v[220:223], a[62:63], v[174:175], v[220:223]// 000000009CB8: D3D700DC 0F735D3E
	s_waitcnt vmcnt(25)                                        // 000000009CC0: BF8C4F79
	v_mfma_i32_16x16x32_i8 v[192:195], a[64:65], v[144:145], v[192:195]// 000000009CC4: D3D700C0 0F032140
	buffer_load_dwordx4 a[192:195], v42, s[12:15], 0 offen     // 000000009CCC: E05C1000 8083C02A
	v_mfma_i32_16x16x32_i8 v[192:195], a[66:67], v[146:147], v[192:195]// 000000009CD4: D3D700C0 0F032542
	ds_write_b64 v3, v[224:225] offset:36096                   // 000000009CDC: D89A8D00 0000E003
	v_mfma_i32_16x16x32_i8 v[192:195], a[68:69], v[148:149], v[192:195]// 000000009CE4: D3D700C0 0F032944
	v_mfma_i32_16x16x32_i8 v[192:195], a[70:71], v[150:151], v[192:195]// 000000009CEC: D3D700C0 0F032D46
	ds_write_b64 v3, v[226:227] offset:44800                   // 000000009CF4: D89AAF00 0000E203
	v_mfma_i32_16x16x32_i8 v[192:195], a[72:73], v[152:153], v[192:195]// 000000009CFC: D3D700C0 0F033148
	buffer_load_dwordx4 a[196:199], v42, s[12:15], 0 offen offset:1024// 000000009D04: E05C1400 8083C42A
	v_mfma_i32_16x16x32_i8 v[192:195], a[74:75], v[154:155], v[192:195]// 000000009D0C: D3D700C0 0F03354A
	ds_write_b64 v3, v[228:229] offset:38272                   // 000000009D14: D89A9580 0000E403
	v_mfma_i32_16x16x32_i8 v[192:195], a[76:77], v[156:157], v[192:195]// 000000009D1C: D3D700C0 0F03394C
	v_mfma_i32_16x16x32_i8 v[192:195], a[78:79], v[158:159], v[192:195]// 000000009D24: D3D700C0 0F033D4E
	ds_write_b64 v3, v[230:231] offset:46976                   // 000000009D2C: D89AB780 0000E603
	v_mfma_i32_16x16x32_i8 v[196:199], a[64:65], v[176:177], v[196:199]// 000000009D34: D3D700C4 0F136140
	buffer_load_dwordx4 a[200:203], v42, s[12:15], 0 offen offset:2048// 000000009D3C: E05C1800 8083C82A
	v_mfma_i32_16x16x32_i8 v[196:199], a[66:67], v[178:179], v[196:199]// 000000009D44: D3D700C4 0F136542
	ds_write_b64 v3, v[232:233] offset:40448                   // 000000009D4C: D89A9E00 0000E803
	v_mfma_i32_16x16x32_i8 v[196:199], a[68:69], v[180:181], v[196:199]// 000000009D54: D3D700C4 0F136944
	v_mfma_i32_16x16x32_i8 v[196:199], a[70:71], v[182:183], v[196:199]// 000000009D5C: D3D700C4 0F136D46
	ds_write_b64 v3, v[234:235] offset:49152                   // 000000009D64: D89AC000 0000EA03
	v_mfma_i32_16x16x32_i8 v[196:199], a[72:73], v[184:185], v[196:199]// 000000009D6C: D3D700C4 0F137148
	buffer_load_dwordx4 a[204:207], v42, s[12:15], 0 offen offset:3072// 000000009D74: E05C1C00 8083CC2A
	v_mfma_i32_16x16x32_i8 v[196:199], a[74:75], v[186:187], v[196:199]// 000000009D7C: D3D700C4 0F13754A
	ds_write_b64 v3, v[236:237] offset:42624                   // 000000009D84: D89AA680 0000EC03
	v_mfma_i32_16x16x32_i8 v[196:199], a[76:77], v[188:189], v[196:199]// 000000009D8C: D3D700C4 0F13794C
	v_mfma_i32_16x16x32_i8 v[196:199], a[78:79], v[190:191], v[196:199]// 000000009D94: D3D700C4 0F137D4E
	ds_write_b64 v3, v[238:239] offset:51328                   // 000000009D9C: D89AC880 0000EE03
	v_mfma_i32_16x16x32_i8 v[200:203], a[80:81], v[144:145], v[200:203]// 000000009DA4: D3D700C8 0F232150
	buffer_load_dwordx4 a[208:211], v43, s[12:15], 0 offen     // 000000009DAC: E05C1000 8083D02B
	v_mfma_i32_16x16x32_i8 v[200:203], a[82:83], v[146:147], v[200:203]// 000000009DB4: D3D700C8 0F232552
	v_mfma_i32_16x16x32_i8 v[200:203], a[84:85], v[148:149], v[200:203]// 000000009DBC: D3D700C8 0F232954
	v_mfma_i32_16x16x32_i8 v[200:203], a[86:87], v[150:151], v[200:203]// 000000009DC4: D3D700C8 0F232D56
	v_mfma_i32_16x16x32_i8 v[200:203], a[88:89], v[152:153], v[200:203]// 000000009DCC: D3D700C8 0F233158
	buffer_load_dwordx4 a[212:215], v43, s[12:15], 0 offen offset:1024// 000000009DD4: E05C1400 8083D42B
	v_mfma_i32_16x16x32_i8 v[200:203], a[90:91], v[154:155], v[200:203]// 000000009DDC: D3D700C8 0F23355A
	v_mfma_i32_16x16x32_i8 v[200:203], a[92:93], v[156:157], v[200:203]// 000000009DE4: D3D700C8 0F23395C
	v_mfma_i32_16x16x32_i8 v[200:203], a[94:95], v[158:159], v[200:203]// 000000009DEC: D3D700C8 0F233D5E
	v_mfma_i32_16x16x32_i8 v[204:207], a[80:81], v[176:177], v[204:207]// 000000009DF4: D3D700CC 0F336150
	buffer_load_dwordx4 a[216:219], v43, s[12:15], 0 offen offset:2048// 000000009DFC: E05C1800 8083D82B
	v_mfma_i32_16x16x32_i8 v[204:207], a[82:83], v[178:179], v[204:207]// 000000009E04: D3D700CC 0F336552
	v_mfma_i32_16x16x32_i8 v[204:207], a[84:85], v[180:181], v[204:207]// 000000009E0C: D3D700CC 0F336954
	v_mfma_i32_16x16x32_i8 v[204:207], a[86:87], v[182:183], v[204:207]// 000000009E14: D3D700CC 0F336D56
	v_mfma_i32_16x16x32_i8 v[204:207], a[88:89], v[184:185], v[204:207]// 000000009E1C: D3D700CC 0F337158
	buffer_load_dwordx4 a[220:223], v43, s[12:15], 0 offen offset:3072// 000000009E24: E05C1C00 8083DC2B
	v_mfma_i32_16x16x32_i8 v[204:207], a[90:91], v[186:187], v[204:207]// 000000009E2C: D3D700CC 0F33755A
	v_mfma_i32_16x16x32_i8 v[204:207], a[92:93], v[188:189], v[204:207]// 000000009E34: D3D700CC 0F33795C
	v_mfma_i32_16x16x32_i8 v[204:207], a[94:95], v[190:191], v[204:207]// 000000009E3C: D3D700CC 0F337D5E
	s_waitcnt vmcnt(24)                                        // 000000009E44: BF8C4F78
	v_mfma_i32_16x16x32_i8 v[208:211], a[96:97], v[144:145], v[208:211]// 000000009E48: D3D700D0 0F432160
	buffer_load_dwordx4 a[224:227], v44, s[12:15], 0 offen     // 000000009E50: E05C1000 8083E02C
	v_mfma_i32_16x16x32_i8 v[208:211], a[98:99], v[146:147], v[208:211]// 000000009E58: D3D700D0 0F432562
	v_mfma_i32_16x16x32_i8 v[208:211], a[100:101], v[148:149], v[208:211]// 000000009E60: D3D700D0 0F432964
	buffer_load_dword v13, v5, s[16:19], 0 offen               // 000000009E68: E0501000 80040D05
	v_mfma_i32_16x16x32_i8 v[208:211], a[102:103], v[150:151], v[208:211]// 000000009E70: D3D700D0 0F432D66
	v_mfma_i32_16x16x32_i8 v[208:211], a[104:105], v[152:153], v[208:211]// 000000009E78: D3D700D0 0F433168
	buffer_load_dwordx4 a[228:231], v44, s[12:15], 0 offen offset:1024// 000000009E80: E05C1400 8083E42C
	v_mfma_i32_16x16x32_i8 v[208:211], a[106:107], v[154:155], v[208:211]// 000000009E88: D3D700D0 0F43356A
	v_mfma_i32_16x16x32_i8 v[208:211], a[108:109], v[156:157], v[208:211]// 000000009E90: D3D700D0 0F43396C
	v_mfma_i32_16x16x32_i8 v[208:211], a[110:111], v[158:159], v[208:211]// 000000009E98: D3D700D0 0F433D6E
	v_mfma_i32_16x16x32_i8 v[212:215], a[96:97], v[176:177], v[212:215]// 000000009EA0: D3D700D4 0F536160
	buffer_load_dwordx4 a[232:235], v44, s[12:15], 0 offen offset:2048// 000000009EA8: E05C1800 8083E82C
	v_mfma_i32_16x16x32_i8 v[212:215], a[98:99], v[178:179], v[212:215]// 000000009EB0: D3D700D4 0F536562
	v_mfma_i32_16x16x32_i8 v[212:215], a[100:101], v[180:181], v[212:215]// 000000009EB8: D3D700D4 0F536964
	s_add_u32 s60, 0x200, s80                                  // 000000009EC0: 803C50FF 00000200
	s_cmp_lt_u32 s60, s81                                      // 000000009EC8: BF0A513C
	v_mfma_i32_16x16x32_i8 v[212:215], a[102:103], v[182:183], v[212:215]// 000000009ECC: D3D700D4 0F536D66
	s_cselect_b32 s56, s56, 0                                  // 000000009ED4: 85388038
	s_cselect_b32 s78, s78, 0                                  // 000000009ED8: 854E804E
	s_cselect_b32 s79, s79, 0                                  // 000000009EDC: 854F804F
	v_mfma_i32_16x16x32_i8 v[212:215], a[104:105], v[184:185], v[212:215]// 000000009EE0: D3D700D4 0F537168
	buffer_load_dwordx4 a[236:239], v44, s[12:15], 0 offen offset:3072// 000000009EE8: E05C1C00 8083EC2C
	v_mfma_i32_16x16x32_i8 v[212:215], a[106:107], v[186:187], v[212:215]// 000000009EF0: D3D700D4 0F53756A
	v_mfma_i32_16x16x32_i8 v[212:215], a[108:109], v[188:189], v[212:215]// 000000009EF8: D3D700D4 0F53796C
	s_add_u32 s16, s79, s16                                    // 000000009F00: 8010104F
	s_addc_u32 s17, 0, s17                                     // 000000009F04: 82111180
	v_mfma_i32_16x16x32_i8 v[212:215], a[110:111], v[190:191], v[212:215]// 000000009F08: D3D700D4 0F537D6E
	v_mfma_i32_16x16x32_i8 v[216:219], a[112:113], v[144:145], v[216:219]// 000000009F10: D3D700D8 0F632170
	buffer_load_dwordx4 a[240:243], v45, s[12:15], 0 offen     // 000000009F18: E05C1000 8083F02D
	v_mfma_i32_16x16x32_i8 v[216:219], a[114:115], v[146:147], v[216:219]// 000000009F20: D3D700D8 0F632572
	v_mfma_i32_16x16x32_i8 v[216:219], a[116:117], v[148:149], v[216:219]// 000000009F28: D3D700D8 0F632974
	v_mfma_i32_16x16x32_i8 v[216:219], a[118:119], v[150:151], v[216:219]// 000000009F30: D3D700D8 0F632D76
	v_mfma_i32_16x16x32_i8 v[216:219], a[120:121], v[152:153], v[216:219]// 000000009F38: D3D700D8 0F633178
	buffer_load_dwordx4 a[244:247], v45, s[12:15], 0 offen offset:1024// 000000009F40: E05C1400 8083F42D
	v_mfma_i32_16x16x32_i8 v[216:219], a[122:123], v[154:155], v[216:219]// 000000009F48: D3D700D8 0F63357A
	v_mfma_i32_16x16x32_i8 v[216:219], a[124:125], v[156:157], v[216:219]// 000000009F50: D3D700D8 0F63397C
	v_mfma_i32_16x16x32_i8 v[216:219], a[126:127], v[158:159], v[216:219]// 000000009F58: D3D700D8 0F633D7E
	v_mfma_i32_16x16x32_i8 v[220:223], a[112:113], v[176:177], v[220:223]// 000000009F60: D3D700DC 0F736170
	buffer_load_dwordx4 a[248:251], v45, s[12:15], 0 offen offset:2048// 000000009F68: E05C1800 8083F82D
	v_mfma_i32_16x16x32_i8 v[220:223], a[114:115], v[178:179], v[220:223]// 000000009F70: D3D700DC 0F736572
	v_mfma_i32_16x16x32_i8 v[220:223], a[116:117], v[180:181], v[220:223]// 000000009F78: D3D700DC 0F736974
	v_mfma_i32_16x16x32_i8 v[220:223], a[118:119], v[182:183], v[220:223]// 000000009F80: D3D700DC 0F736D76
	v_mfma_i32_16x16x32_i8 v[220:223], a[120:121], v[184:185], v[220:223]// 000000009F88: D3D700DC 0F737178
	buffer_load_dwordx4 a[252:255], v45, s[12:15], 0 offen offset:3072// 000000009F90: E05C1C00 8083FC2D
	v_mfma_i32_16x16x32_i8 v[220:223], a[122:123], v[186:187], v[220:223]// 000000009F98: D3D700DC 0F73757A
	v_mfma_i32_16x16x32_i8 v[220:223], a[124:125], v[188:189], v[220:223]// 000000009FA0: D3D700DC 0F73797C
	s_add_u32 s12, s56, s12                                    // 000000009FA8: 800C0C38
	s_addc_u32 s13, 0, s13                                     // 000000009FAC: 820D0D80
	v_mfma_i32_16x16x32_i8 v[220:223], a[126:127], v[190:191], v[220:223]// 000000009FB0: D3D700DC 0F737D7E
	v_mov_b32_e32 v96, v24                                     // 000000009FB8: 7EC00318
	v_mov_b32_e32 v100, v20                                    // 000000009FBC: 7EC80314
	v_mov_b32_e32 v97, v24                                     // 000000009FC0: 7EC20318
	v_mov_b32_e32 v101, v20                                    // 000000009FC4: 7ECA0314
	v_mov_b32_e32 v98, v25                                     // 000000009FC8: 7EC40319
	v_mov_b32_e32 v102, v21                                    // 000000009FCC: 7ECC0315
	v_mov_b32_e32 v99, v25                                     // 000000009FD0: 7EC60319
	v_mov_b32_e32 v103, v21                                    // 000000009FD4: 7ECE0315
	v_cvt_f32_i32_e32 v192, v192                               // 000000009FD8: 7F800BC0
	v_cvt_f32_i32_e32 v193, v193                               // 000000009FDC: 7F820BC1
	v_cvt_f32_i32_e32 v194, v194                               // 000000009FE0: 7F840BC2
	v_cvt_f32_i32_e32 v195, v195                               // 000000009FE4: 7F860BC3
	v_pk_mul_f32 v[192:193], v[96:97], v[192:193]              // 000000009FE8: D3B140C0 18038160
	v_pk_mul_f32 v[194:195], v[96:97], v[194:195]              // 000000009FF0: D3B140C2 18038560
	v_mul_f32_dpp v192, v12, v192 row_newbcast:0 row_mask:0xf bank_mask:0xf// 000000009FF8: 0B8180FA FF01500C
	v_mul_f32_dpp v193, v12, v193 row_newbcast:1 row_mask:0xf bank_mask:0xf// 00000000A000: 0B8382FA FF01510C
	v_mul_f32_dpp v194, v12, v194 row_newbcast:2 row_mask:0xf bank_mask:0xf// 00000000A008: 0B8584FA FF01520C
	v_mul_f32_dpp v195, v12, v195 row_newbcast:3 row_mask:0xf bank_mask:0xf// 00000000A010: 0B8786FA FF01530C
	v_pk_mul_f32 v[192:193], v[100:101], v[192:193]            // 00000000A018: D3B140C0 18038164
	v_pk_mul_f32 v[194:195], v[100:101], v[194:195]            // 00000000A020: D3B140C2 18038564
	v_cvt_f32_i32_e32 v196, v196                               // 00000000A028: 7F880BC4
	v_cvt_f32_i32_e32 v197, v197                               // 00000000A02C: 7F8A0BC5
	v_cvt_f32_i32_e32 v198, v198                               // 00000000A030: 7F8C0BC6
	v_cvt_f32_i32_e32 v199, v199                               // 00000000A034: 7F8E0BC7
	v_pk_mul_f32 v[196:197], v[98:99], v[196:197]              // 00000000A038: D3B140C4 18038962
	v_pk_mul_f32 v[198:199], v[98:99], v[198:199]              // 00000000A040: D3B140C6 18038D62
	v_mul_f32_dpp v196, v12, v196 row_newbcast:0 row_mask:0xf bank_mask:0xf// 00000000A048: 0B8988FA FF01500C
	v_mul_f32_dpp v197, v12, v197 row_newbcast:1 row_mask:0xf bank_mask:0xf// 00000000A050: 0B8B8AFA FF01510C
	v_mul_f32_dpp v198, v12, v198 row_newbcast:2 row_mask:0xf bank_mask:0xf// 00000000A058: 0B8D8CFA FF01520C
	v_mul_f32_dpp v199, v12, v199 row_newbcast:3 row_mask:0xf bank_mask:0xf// 00000000A060: 0B8F8EFA FF01530C
	v_pk_mul_f32 v[196:197], v[102:103], v[196:197]            // 00000000A068: D3B140C4 18038966
	v_pk_mul_f32 v[198:199], v[102:103], v[198:199]            // 00000000A070: D3B140C6 18038D66
	v_cvt_f32_i32_e32 v200, v200                               // 00000000A078: 7F900BC8
	v_cvt_f32_i32_e32 v201, v201                               // 00000000A07C: 7F920BC9
	v_cvt_f32_i32_e32 v202, v202                               // 00000000A080: 7F940BCA
	v_cvt_f32_i32_e32 v203, v203                               // 00000000A084: 7F960BCB
	v_pk_mul_f32 v[200:201], v[96:97], v[200:201]              // 00000000A088: D3B140C8 18039160
	v_pk_mul_f32 v[202:203], v[96:97], v[202:203]              // 00000000A090: D3B140CA 18039560
	v_mul_f32_dpp v200, v12, v200 row_newbcast:4 row_mask:0xf bank_mask:0xf// 00000000A098: 0B9190FA FF01540C
	v_mul_f32_dpp v201, v12, v201 row_newbcast:5 row_mask:0xf bank_mask:0xf// 00000000A0A0: 0B9392FA FF01550C
	v_mul_f32_dpp v202, v12, v202 row_newbcast:6 row_mask:0xf bank_mask:0xf// 00000000A0A8: 0B9594FA FF01560C
	v_mul_f32_dpp v203, v12, v203 row_newbcast:7 row_mask:0xf bank_mask:0xf// 00000000A0B0: 0B9796FA FF01570C
	v_pk_mul_f32 v[200:201], v[100:101], v[200:201]            // 00000000A0B8: D3B140C8 18039164
	v_pk_mul_f32 v[202:203], v[100:101], v[202:203]            // 00000000A0C0: D3B140CA 18039564
	v_cvt_f32_i32_e32 v204, v204                               // 00000000A0C8: 7F980BCC
	v_cvt_f32_i32_e32 v205, v205                               // 00000000A0CC: 7F9A0BCD
	v_cvt_f32_i32_e32 v206, v206                               // 00000000A0D0: 7F9C0BCE
	v_cvt_f32_i32_e32 v207, v207                               // 00000000A0D4: 7F9E0BCF
	v_pk_mul_f32 v[204:205], v[98:99], v[204:205]              // 00000000A0D8: D3B140CC 18039962
	v_pk_mul_f32 v[206:207], v[98:99], v[206:207]              // 00000000A0E0: D3B140CE 18039D62
	v_mul_f32_dpp v204, v12, v204 row_newbcast:4 row_mask:0xf bank_mask:0xf// 00000000A0E8: 0B9998FA FF01540C
	v_mul_f32_dpp v205, v12, v205 row_newbcast:5 row_mask:0xf bank_mask:0xf// 00000000A0F0: 0B9B9AFA FF01550C
	v_mul_f32_dpp v206, v12, v206 row_newbcast:6 row_mask:0xf bank_mask:0xf// 00000000A0F8: 0B9D9CFA FF01560C
	v_mul_f32_dpp v207, v12, v207 row_newbcast:7 row_mask:0xf bank_mask:0xf// 00000000A100: 0B9F9EFA FF01570C
	v_pk_mul_f32 v[204:205], v[102:103], v[204:205]            // 00000000A108: D3B140CC 18039966
	v_pk_mul_f32 v[206:207], v[102:103], v[206:207]            // 00000000A110: D3B140CE 18039D66
	v_cvt_f32_i32_e32 v208, v208                               // 00000000A118: 7FA00BD0
	v_cvt_f32_i32_e32 v209, v209                               // 00000000A11C: 7FA20BD1
	v_cvt_f32_i32_e32 v210, v210                               // 00000000A120: 7FA40BD2
	v_cvt_f32_i32_e32 v211, v211                               // 00000000A124: 7FA60BD3
	v_pk_mul_f32 v[208:209], v[96:97], v[208:209]              // 00000000A128: D3B140D0 1803A160
	v_pk_mul_f32 v[210:211], v[96:97], v[210:211]              // 00000000A130: D3B140D2 1803A560
	v_mul_f32_dpp v208, v12, v208 row_newbcast:8 row_mask:0xf bank_mask:0xf// 00000000A138: 0BA1A0FA FF01580C
	v_mul_f32_dpp v209, v12, v209 row_newbcast:9 row_mask:0xf bank_mask:0xf// 00000000A140: 0BA3A2FA FF01590C
	v_mul_f32_dpp v210, v12, v210 row_newbcast:10 row_mask:0xf bank_mask:0xf// 00000000A148: 0BA5A4FA FF015A0C
	v_mul_f32_dpp v211, v12, v211 row_newbcast:11 row_mask:0xf bank_mask:0xf// 00000000A150: 0BA7A6FA FF015B0C
	v_pk_mul_f32 v[208:209], v[100:101], v[208:209]            // 00000000A158: D3B140D0 1803A164
	v_pk_mul_f32 v[210:211], v[100:101], v[210:211]            // 00000000A160: D3B140D2 1803A564
	v_cvt_f32_i32_e32 v212, v212                               // 00000000A168: 7FA80BD4
	v_cvt_f32_i32_e32 v213, v213                               // 00000000A16C: 7FAA0BD5
	v_cvt_f32_i32_e32 v214, v214                               // 00000000A170: 7FAC0BD6
	v_cvt_f32_i32_e32 v215, v215                               // 00000000A174: 7FAE0BD7
	v_pk_mul_f32 v[212:213], v[98:99], v[212:213]              // 00000000A178: D3B140D4 1803A962
	v_pk_mul_f32 v[214:215], v[98:99], v[214:215]              // 00000000A180: D3B140D6 1803AD62
	v_mul_f32_dpp v212, v12, v212 row_newbcast:8 row_mask:0xf bank_mask:0xf// 00000000A188: 0BA9A8FA FF01580C
	v_mul_f32_dpp v213, v12, v213 row_newbcast:9 row_mask:0xf bank_mask:0xf// 00000000A190: 0BABAAFA FF01590C
	v_mul_f32_dpp v214, v12, v214 row_newbcast:10 row_mask:0xf bank_mask:0xf// 00000000A198: 0BADACFA FF015A0C
	v_mul_f32_dpp v215, v12, v215 row_newbcast:11 row_mask:0xf bank_mask:0xf// 00000000A1A0: 0BAFAEFA FF015B0C
	v_pk_mul_f32 v[212:213], v[102:103], v[212:213]            // 00000000A1A8: D3B140D4 1803A966
	v_pk_mul_f32 v[214:215], v[102:103], v[214:215]            // 00000000A1B0: D3B140D6 1803AD66
	v_cvt_f32_i32_e32 v216, v216                               // 00000000A1B8: 7FB00BD8
	v_cvt_f32_i32_e32 v217, v217                               // 00000000A1BC: 7FB20BD9
	v_cvt_f32_i32_e32 v218, v218                               // 00000000A1C0: 7FB40BDA
	v_cvt_f32_i32_e32 v219, v219                               // 00000000A1C4: 7FB60BDB
	v_pk_mul_f32 v[216:217], v[96:97], v[216:217]              // 00000000A1C8: D3B140D8 1803B160
	v_pk_mul_f32 v[218:219], v[96:97], v[218:219]              // 00000000A1D0: D3B140DA 1803B560
	v_mul_f32_dpp v216, v12, v216 row_newbcast:12 row_mask:0xf bank_mask:0xf// 00000000A1D8: 0BB1B0FA FF015C0C
	v_mul_f32_dpp v217, v12, v217 row_newbcast:13 row_mask:0xf bank_mask:0xf// 00000000A1E0: 0BB3B2FA FF015D0C
	v_mul_f32_dpp v218, v12, v218 row_newbcast:14 row_mask:0xf bank_mask:0xf// 00000000A1E8: 0BB5B4FA FF015E0C
	v_mul_f32_dpp v219, v12, v219 row_newbcast:15 row_mask:0xf bank_mask:0xf// 00000000A1F0: 0BB7B6FA FF015F0C
	v_pk_mul_f32 v[216:217], v[100:101], v[216:217]            // 00000000A1F8: D3B140D8 1803B164
	v_pk_mul_f32 v[218:219], v[100:101], v[218:219]            // 00000000A200: D3B140DA 1803B564
	v_cvt_f32_i32_e32 v220, v220                               // 00000000A208: 7FB80BDC
	v_cvt_f32_i32_e32 v221, v221                               // 00000000A20C: 7FBA0BDD
	v_cvt_f32_i32_e32 v222, v222                               // 00000000A210: 7FBC0BDE
	v_cvt_f32_i32_e32 v223, v223                               // 00000000A214: 7FBE0BDF
	v_pk_mul_f32 v[220:221], v[98:99], v[220:221]              // 00000000A218: D3B140DC 1803B962
	v_pk_mul_f32 v[222:223], v[98:99], v[222:223]              // 00000000A220: D3B140DE 1803BD62
	v_mul_f32_dpp v220, v12, v220 row_newbcast:12 row_mask:0xf bank_mask:0xf// 00000000A228: 0BB9B8FA FF015C0C
	v_mul_f32_dpp v221, v12, v221 row_newbcast:13 row_mask:0xf bank_mask:0xf// 00000000A230: 0BBBBAFA FF015D0C
	v_mul_f32_dpp v222, v12, v222 row_newbcast:14 row_mask:0xf bank_mask:0xf// 00000000A238: 0BBDBCFA FF015E0C
	v_mul_f32_dpp v223, v12, v223 row_newbcast:15 row_mask:0xf bank_mask:0xf// 00000000A240: 0BBFBEFA FF015F0C
	v_pk_mul_f32 v[220:221], v[102:103], v[220:221]            // 00000000A248: D3B140DC 1803B966
	v_pk_mul_f32 v[222:223], v[102:103], v[222:223]            // 00000000A250: D3B140DE 1803BD66
	v_cmp_u_f32_e64 s[48:49], v192, v192                       // 00000000A258: D0480030 000381C0
	v_add3_u32 v50, v192, v53, 1                               // 00000000A260: D1FF0032 02066BC0
	v_cndmask_b32_e64 v54, v50, v52, s[48:49]                  // 00000000A268: D1000036 00C26932
	v_cmp_u_f32_e64 s[48:49], v193, v193                       // 00000000A270: D0480030 000383C1
	v_add3_u32 v50, v193, v53, 1                               // 00000000A278: D1FF0032 02066BC1
	v_cndmask_b32_e64 v55, v50, v52, s[48:49]                  // 00000000A280: D1000037 00C26932
	v_perm_b32 v192, v55, v54, s52                             // 00000000A288: D1ED00C0 00D26D37
	v_cmp_u_f32_e64 s[48:49], v194, v194                       // 00000000A290: D0480030 000385C2
	v_add3_u32 v50, v194, v53, 1                               // 00000000A298: D1FF0032 02066BC2
	v_cndmask_b32_e64 v54, v50, v52, s[48:49]                  // 00000000A2A0: D1000036 00C26932
	v_cmp_u_f32_e64 s[48:49], v195, v195                       // 00000000A2A8: D0480030 000387C3
	v_add3_u32 v50, v195, v53, 1                               // 00000000A2B0: D1FF0032 02066BC3
	v_cndmask_b32_e64 v55, v50, v52, s[48:49]                  // 00000000A2B8: D1000037 00C26932
	v_perm_b32 v193, v55, v54, s52                             // 00000000A2C0: D1ED00C1 00D26D37
	v_cmp_u_f32_e64 s[48:49], v196, v196                       // 00000000A2C8: D0480030 000389C4
	v_add3_u32 v50, v196, v53, 1                               // 00000000A2D0: D1FF0032 02066BC4
	v_cndmask_b32_e64 v54, v50, v52, s[48:49]                  // 00000000A2D8: D1000036 00C26932
	v_cmp_u_f32_e64 s[48:49], v197, v197                       // 00000000A2E0: D0480030 00038BC5
	v_add3_u32 v50, v197, v53, 1                               // 00000000A2E8: D1FF0032 02066BC5
	v_cndmask_b32_e64 v55, v50, v52, s[48:49]                  // 00000000A2F0: D1000037 00C26932
	v_perm_b32 v194, v55, v54, s52                             // 00000000A2F8: D1ED00C2 00D26D37
	v_cmp_u_f32_e64 s[48:49], v198, v198                       // 00000000A300: D0480030 00038DC6
	v_add3_u32 v50, v198, v53, 1                               // 00000000A308: D1FF0032 02066BC6
	v_cndmask_b32_e64 v54, v50, v52, s[48:49]                  // 00000000A310: D1000036 00C26932
	v_cmp_u_f32_e64 s[48:49], v199, v199                       // 00000000A318: D0480030 00038FC7
	v_add3_u32 v50, v199, v53, 1                               // 00000000A320: D1FF0032 02066BC7
	v_cndmask_b32_e64 v55, v50, v52, s[48:49]                  // 00000000A328: D1000037 00C26932
	v_perm_b32 v195, v55, v54, s52                             // 00000000A330: D1ED00C3 00D26D37
	v_cmp_u_f32_e64 s[48:49], v200, v200                       // 00000000A338: D0480030 000391C8
	v_add3_u32 v50, v200, v53, 1                               // 00000000A340: D1FF0032 02066BC8
	v_cndmask_b32_e64 v54, v50, v52, s[48:49]                  // 00000000A348: D1000036 00C26932
	v_cmp_u_f32_e64 s[48:49], v201, v201                       // 00000000A350: D0480030 000393C9
	v_add3_u32 v50, v201, v53, 1                               // 00000000A358: D1FF0032 02066BC9
	v_cndmask_b32_e64 v55, v50, v52, s[48:49]                  // 00000000A360: D1000037 00C26932
	v_perm_b32 v196, v55, v54, s52                             // 00000000A368: D1ED00C4 00D26D37
	v_cmp_u_f32_e64 s[48:49], v202, v202                       // 00000000A370: D0480030 000395CA
	v_add3_u32 v50, v202, v53, 1                               // 00000000A378: D1FF0032 02066BCA
	v_cndmask_b32_e64 v54, v50, v52, s[48:49]                  // 00000000A380: D1000036 00C26932
	v_cmp_u_f32_e64 s[48:49], v203, v203                       // 00000000A388: D0480030 000397CB
	v_add3_u32 v50, v203, v53, 1                               // 00000000A390: D1FF0032 02066BCB
	v_cndmask_b32_e64 v55, v50, v52, s[48:49]                  // 00000000A398: D1000037 00C26932
	v_perm_b32 v197, v55, v54, s52                             // 00000000A3A0: D1ED00C5 00D26D37
	v_cmp_u_f32_e64 s[48:49], v204, v204                       // 00000000A3A8: D0480030 000399CC
	v_add3_u32 v50, v204, v53, 1                               // 00000000A3B0: D1FF0032 02066BCC
	v_cndmask_b32_e64 v54, v50, v52, s[48:49]                  // 00000000A3B8: D1000036 00C26932
	v_cmp_u_f32_e64 s[48:49], v205, v205                       // 00000000A3C0: D0480030 00039BCD
	v_add3_u32 v50, v205, v53, 1                               // 00000000A3C8: D1FF0032 02066BCD
	v_cndmask_b32_e64 v55, v50, v52, s[48:49]                  // 00000000A3D0: D1000037 00C26932
	v_perm_b32 v198, v55, v54, s52                             // 00000000A3D8: D1ED00C6 00D26D37
	v_cmp_u_f32_e64 s[48:49], v206, v206                       // 00000000A3E0: D0480030 00039DCE
	v_add3_u32 v50, v206, v53, 1                               // 00000000A3E8: D1FF0032 02066BCE
	v_cndmask_b32_e64 v54, v50, v52, s[48:49]                  // 00000000A3F0: D1000036 00C26932
	v_cmp_u_f32_e64 s[48:49], v207, v207                       // 00000000A3F8: D0480030 00039FCF
	v_add3_u32 v50, v207, v53, 1                               // 00000000A400: D1FF0032 02066BCF
	v_cndmask_b32_e64 v55, v50, v52, s[48:49]                  // 00000000A408: D1000037 00C26932
	v_perm_b32 v199, v55, v54, s52                             // 00000000A410: D1ED00C7 00D26D37
	v_cmp_u_f32_e64 s[48:49], v208, v208                       // 00000000A418: D0480030 0003A1D0
	v_add3_u32 v50, v208, v53, 1                               // 00000000A420: D1FF0032 02066BD0
	v_cndmask_b32_e64 v54, v50, v52, s[48:49]                  // 00000000A428: D1000036 00C26932
	v_cmp_u_f32_e64 s[48:49], v209, v209                       // 00000000A430: D0480030 0003A3D1
	v_add3_u32 v50, v209, v53, 1                               // 00000000A438: D1FF0032 02066BD1
	v_cndmask_b32_e64 v55, v50, v52, s[48:49]                  // 00000000A440: D1000037 00C26932
	v_perm_b32 v200, v55, v54, s52                             // 00000000A448: D1ED00C8 00D26D37
	v_cmp_u_f32_e64 s[48:49], v210, v210                       // 00000000A450: D0480030 0003A5D2
	v_add3_u32 v50, v210, v53, 1                               // 00000000A458: D1FF0032 02066BD2
	v_cndmask_b32_e64 v54, v50, v52, s[48:49]                  // 00000000A460: D1000036 00C26932
	v_cmp_u_f32_e64 s[48:49], v211, v211                       // 00000000A468: D0480030 0003A7D3
	v_add3_u32 v50, v211, v53, 1                               // 00000000A470: D1FF0032 02066BD3
	v_cndmask_b32_e64 v55, v50, v52, s[48:49]                  // 00000000A478: D1000037 00C26932
	v_perm_b32 v201, v55, v54, s52                             // 00000000A480: D1ED00C9 00D26D37
	v_cmp_u_f32_e64 s[48:49], v212, v212                       // 00000000A488: D0480030 0003A9D4
	v_add3_u32 v50, v212, v53, 1                               // 00000000A490: D1FF0032 02066BD4
	v_cndmask_b32_e64 v54, v50, v52, s[48:49]                  // 00000000A498: D1000036 00C26932
	v_cmp_u_f32_e64 s[48:49], v213, v213                       // 00000000A4A0: D0480030 0003ABD5
	v_add3_u32 v50, v213, v53, 1                               // 00000000A4A8: D1FF0032 02066BD5
	v_cndmask_b32_e64 v55, v50, v52, s[48:49]                  // 00000000A4B0: D1000037 00C26932
	v_perm_b32 v202, v55, v54, s52                             // 00000000A4B8: D1ED00CA 00D26D37
	v_cmp_u_f32_e64 s[48:49], v214, v214                       // 00000000A4C0: D0480030 0003ADD6
	v_add3_u32 v50, v214, v53, 1                               // 00000000A4C8: D1FF0032 02066BD6
	v_cndmask_b32_e64 v54, v50, v52, s[48:49]                  // 00000000A4D0: D1000036 00C26932
	v_cmp_u_f32_e64 s[48:49], v215, v215                       // 00000000A4D8: D0480030 0003AFD7
	v_add3_u32 v50, v215, v53, 1                               // 00000000A4E0: D1FF0032 02066BD7
	v_cndmask_b32_e64 v55, v50, v52, s[48:49]                  // 00000000A4E8: D1000037 00C26932
	v_perm_b32 v203, v55, v54, s52                             // 00000000A4F0: D1ED00CB 00D26D37
	v_cmp_u_f32_e64 s[48:49], v216, v216                       // 00000000A4F8: D0480030 0003B1D8
	v_add3_u32 v50, v216, v53, 1                               // 00000000A500: D1FF0032 02066BD8
	v_cndmask_b32_e64 v54, v50, v52, s[48:49]                  // 00000000A508: D1000036 00C26932
	v_cmp_u_f32_e64 s[48:49], v217, v217                       // 00000000A510: D0480030 0003B3D9
	v_add3_u32 v50, v217, v53, 1                               // 00000000A518: D1FF0032 02066BD9
	v_cndmask_b32_e64 v55, v50, v52, s[48:49]                  // 00000000A520: D1000037 00C26932
	v_perm_b32 v204, v55, v54, s52                             // 00000000A528: D1ED00CC 00D26D37
	v_cmp_u_f32_e64 s[48:49], v218, v218                       // 00000000A530: D0480030 0003B5DA
	v_add3_u32 v50, v218, v53, 1                               // 00000000A538: D1FF0032 02066BDA
	v_cndmask_b32_e64 v54, v50, v52, s[48:49]                  // 00000000A540: D1000036 00C26932
	v_cmp_u_f32_e64 s[48:49], v219, v219                       // 00000000A548: D0480030 0003B7DB
	v_add3_u32 v50, v219, v53, 1                               // 00000000A550: D1FF0032 02066BDB
	v_cndmask_b32_e64 v55, v50, v52, s[48:49]                  // 00000000A558: D1000037 00C26932
	v_perm_b32 v205, v55, v54, s52                             // 00000000A560: D1ED00CD 00D26D37
	v_cmp_u_f32_e64 s[48:49], v220, v220                       // 00000000A568: D0480030 0003B9DC
	v_add3_u32 v50, v220, v53, 1                               // 00000000A570: D1FF0032 02066BDC
	v_cndmask_b32_e64 v54, v50, v52, s[48:49]                  // 00000000A578: D1000036 00C26932
	v_cmp_u_f32_e64 s[48:49], v221, v221                       // 00000000A580: D0480030 0003BBDD
	v_add3_u32 v50, v221, v53, 1                               // 00000000A588: D1FF0032 02066BDD
	v_cndmask_b32_e64 v55, v50, v52, s[48:49]                  // 00000000A590: D1000037 00C26932
	v_perm_b32 v206, v55, v54, s52                             // 00000000A598: D1ED00CE 00D26D37
	v_cmp_u_f32_e64 s[48:49], v222, v222                       // 00000000A5A0: D0480030 0003BDDE
	v_add3_u32 v50, v222, v53, 1                               // 00000000A5A8: D1FF0032 02066BDE
	v_cndmask_b32_e64 v54, v50, v52, s[48:49]                  // 00000000A5B0: D1000036 00C26932
	v_cmp_u_f32_e64 s[48:49], v223, v223                       // 00000000A5B8: D0480030 0003BFDF
	v_add3_u32 v50, v223, v53, 1                               // 00000000A5C0: D1FF0032 02066BDF
	v_cndmask_b32_e64 v55, v50, v52, s[48:49]                  // 00000000A5C8: D1000037 00C26932
	v_perm_b32 v207, v55, v54, s52                             // 00000000A5D0: D1ED00CF 00D26D37
	s_setvskip s20, 0                                          // 00000000A5D8: BF108014
	global_atomic_pk_add_bf16 v80, v64, s[8:9]                 // 00000000A5DC: DD488000 00084050
	s_setvskip 0, 0                                            // 00000000A5E4: BF108080
	s_setvskip s20, 0                                          // 00000000A5E8: BF108014
	global_atomic_pk_add_bf16 v80, v65, s[8:9] offset:256      // 00000000A5EC: DD488100 00084150
	s_setvskip 0, 0                                            // 00000000A5F4: BF108080
	s_setvskip s20, 1                                          // 00000000A5F8: BF108114
	global_atomic_pk_add_bf16 v82, v66, s[8:9]                 // 00000000A5FC: DD488000 00084252
	s_setvskip 0, 0                                            // 00000000A604: BF108080
	s_setvskip s20, 1                                          // 00000000A608: BF108114
	global_atomic_pk_add_bf16 v82, v67, s[8:9] offset:256      // 00000000A60C: DD488100 00084352
	s_setvskip 0, 0                                            // 00000000A614: BF108080
	s_setvskip s20, 2                                          // 00000000A618: BF108214
	global_atomic_pk_add_bf16 v84, v68, s[8:9]                 // 00000000A61C: DD488000 00084454
	s_setvskip 0, 0                                            // 00000000A624: BF108080
	s_setvskip s20, 2                                          // 00000000A628: BF108214
	global_atomic_pk_add_bf16 v84, v69, s[8:9] offset:256      // 00000000A62C: DD488100 00084554
	s_setvskip 0, 0                                            // 00000000A634: BF108080
	s_setvskip s20, 3                                          // 00000000A638: BF108314
	global_atomic_pk_add_bf16 v86, v70, s[8:9]                 // 00000000A63C: DD488000 00084656
	s_setvskip 0, 0                                            // 00000000A644: BF108080
	s_setvskip s20, 3                                          // 00000000A648: BF108314
	global_atomic_pk_add_bf16 v86, v71, s[8:9] offset:256      // 00000000A64C: DD488100 00084756
	s_setvskip 0, 0                                            // 00000000A654: BF108080
	s_setvskip s20, 4                                          // 00000000A658: BF108414
	global_atomic_pk_add_bf16 v88, v72, s[8:9]                 // 00000000A65C: DD488000 00084858
	s_setvskip 0, 0                                            // 00000000A664: BF108080
	s_setvskip s20, 4                                          // 00000000A668: BF108414
	global_atomic_pk_add_bf16 v88, v73, s[8:9] offset:256      // 00000000A66C: DD488100 00084958
	s_setvskip 0, 0                                            // 00000000A674: BF108080
	s_setvskip s20, 5                                          // 00000000A678: BF108514
	global_atomic_pk_add_bf16 v90, v74, s[8:9]                 // 00000000A67C: DD488000 00084A5A
	s_setvskip 0, 0                                            // 00000000A684: BF108080
	s_setvskip s20, 5                                          // 00000000A688: BF108514
	global_atomic_pk_add_bf16 v90, v75, s[8:9] offset:256      // 00000000A68C: DD488100 00084B5A
	s_setvskip 0, 0                                            // 00000000A694: BF108080
	s_setvskip s20, 6                                          // 00000000A698: BF108614
	global_atomic_pk_add_bf16 v92, v76, s[8:9]                 // 00000000A69C: DD488000 00084C5C
	s_setvskip 0, 0                                            // 00000000A6A4: BF108080
	s_setvskip s20, 6                                          // 00000000A6A8: BF108614
	global_atomic_pk_add_bf16 v92, v77, s[8:9] offset:256      // 00000000A6AC: DD488100 00084D5C
	s_setvskip 0, 0                                            // 00000000A6B4: BF108080
	s_setvskip s20, 7                                          // 00000000A6B8: BF108714
	global_atomic_pk_add_bf16 v94, v78, s[8:9]                 // 00000000A6BC: DD488000 00084E5E
	s_setvskip 0, 0                                            // 00000000A6C4: BF108080
	s_setvskip s20, 7                                          // 00000000A6C8: BF108714
	global_atomic_pk_add_bf16 v94, v79, s[8:9] offset:256      // 00000000A6CC: DD488100 00084F5E
	s_setvskip 0, 0                                            // 00000000A6D4: BF108080
	s_cmp_ge_u32 s80, 0x200                                    // 00000000A6D8: BF09FF50 00000200
	s_cselect_b32 s59, 0x200, s59                              // 00000000A6E0: 853B3BFF 00000200
	s_add_u32 s8, s59, s8                                      // 00000000A6E8: 8008083B
	s_addc_u32 s9, 0, s9                                       // 00000000A6EC: 82090980
	s_addk_i32 s80, 0x100                                      // 00000000A6F0: B7500100
	s_cmp_lt_i32 s80, s81                                      // 00000000A6F4: BF045150
	s_cbranch_scc0 label_121C                                  // 00000000A6F8: BF84F3DD
	s_waitcnt vmcnt(25) lgkmcnt(0)                             // 00000000A6FC: BF8C4079
	s_barrier                                                  // 00000000A700: BF8A0000
	v_mfma_i32_16x16x32_i8 v[224:227], a[128:129], v[128:129], 0// 00000000A704: D3D700E0 0A030180
	buffer_load_dwordx4 a[0:3], v42, s[12:15], 0 offen         // 00000000A70C: E05C1000 8083002A
	v_mfma_i32_16x16x32_i8 v[224:227], a[130:131], v[130:131], v[224:227]// 00000000A714: D3D700E0 0F830582
	ds_read_b32 v64, v4 offset:36096                           // 00000000A71C: D86C8D00 40000004
	ds_read_b32 v65, v4 offset:40448                           // 00000000A724: D86C9E00 41000004
	v_mfma_i32_16x16x32_i8 v[224:227], a[132:133], v[132:133], v[224:227]// 00000000A72C: D3D700E0 0F830984
	v_mfma_i32_16x16x32_i8 v[224:227], a[134:135], v[134:135], v[224:227]// 00000000A734: D3D700E0 0F830D86
	ds_read_b32 v66, v4 offset:36128                           // 00000000A73C: D86C8D20 42000004
	ds_read_b32 v67, v4 offset:40480                           // 00000000A744: D86C9E20 43000004
	v_mfma_i32_16x16x32_i8 v[224:227], a[136:137], v[136:137], v[224:227]// 00000000A74C: D3D700E0 0F831188
	buffer_load_dwordx4 a[4:7], v42, s[12:15], 0 offen offset:1024// 00000000A754: E05C1400 8083042A
	v_mfma_i32_16x16x32_i8 v[224:227], a[138:139], v[138:139], v[224:227]// 00000000A75C: D3D700E0 0F83158A
	ds_read_b32 v68, v4 offset:36160                           // 00000000A764: D86C8D40 44000004
	ds_read_b32 v69, v4 offset:40512                           // 00000000A76C: D86C9E40 45000004
	v_mfma_i32_16x16x32_i8 v[224:227], a[140:141], v[140:141], v[224:227]// 00000000A774: D3D700E0 0F83198C
	v_mfma_i32_16x16x32_i8 v[224:227], a[142:143], v[142:143], v[224:227]// 00000000A77C: D3D700E0 0F831D8E
	ds_read_b32 v70, v4 offset:36192                           // 00000000A784: D86C8D60 46000004
	ds_read_b32 v71, v4 offset:40544                           // 00000000A78C: D86C9E60 47000004
	v_mfma_i32_16x16x32_i8 v[228:231], a[128:129], v[160:161], 0// 00000000A794: D3D700E4 0A034180
	buffer_load_dwordx4 a[8:11], v42, s[12:15], 0 offen offset:2048// 00000000A79C: E05C1800 8083082A
	v_mfma_i32_16x16x32_i8 v[228:231], a[130:131], v[162:163], v[228:231]// 00000000A7A4: D3D700E4 0F934582
	ds_read_b32 v72, v4 offset:44800                           // 00000000A7AC: D86CAF00 48000004
	ds_read_b32 v73, v4 offset:49152                           // 00000000A7B4: D86CC000 49000004
	v_mfma_i32_16x16x32_i8 v[228:231], a[132:133], v[164:165], v[228:231]// 00000000A7BC: D3D700E4 0F934984
	v_mfma_i32_16x16x32_i8 v[228:231], a[134:135], v[166:167], v[228:231]// 00000000A7C4: D3D700E4 0F934D86
	ds_read_b32 v74, v4 offset:44832                           // 00000000A7CC: D86CAF20 4A000004
	ds_read_b32 v75, v4 offset:49184                           // 00000000A7D4: D86CC020 4B000004
	v_mfma_i32_16x16x32_i8 v[228:231], a[136:137], v[168:169], v[228:231]// 00000000A7DC: D3D700E4 0F935188
	buffer_load_dwordx4 a[12:15], v42, s[12:15], 0 offen offset:3072// 00000000A7E4: E05C1C00 80830C2A
	v_mfma_i32_16x16x32_i8 v[228:231], a[138:139], v[170:171], v[228:231]// 00000000A7EC: D3D700E4 0F93558A
	ds_read_b32 v76, v4 offset:44864                           // 00000000A7F4: D86CAF40 4C000004
	ds_read_b32 v77, v4 offset:49216                           // 00000000A7FC: D86CC040 4D000004
	v_mfma_i32_16x16x32_i8 v[228:231], a[140:141], v[172:173], v[228:231]// 00000000A804: D3D700E4 0F93598C
	v_mfma_i32_16x16x32_i8 v[228:231], a[142:143], v[174:175], v[228:231]// 00000000A80C: D3D700E4 0F935D8E
	ds_read_b32 v78, v4 offset:44896                           // 00000000A814: D86CAF60 4E000004
	ds_read_b32 v79, v4 offset:49248                           // 00000000A81C: D86CC060 4F000004
	v_mfma_i32_16x16x32_i8 v[232:235], a[144:145], v[128:129], 0// 00000000A824: D3D700E8 0A030190
	buffer_load_dwordx4 a[16:19], v43, s[12:15], 0 offen       // 00000000A82C: E05C1000 8083102B
	v_mfma_i32_16x16x32_i8 v[232:235], a[146:147], v[130:131], v[232:235]// 00000000A834: D3D700E8 0FA30592
	v_mfma_i32_16x16x32_i8 v[232:235], a[148:149], v[132:133], v[232:235]// 00000000A83C: D3D700E8 0FA30994
	v_mfma_i32_16x16x32_i8 v[232:235], a[150:151], v[134:135], v[232:235]// 00000000A844: D3D700E8 0FA30D96
	v_mfma_i32_16x16x32_i8 v[232:235], a[152:153], v[136:137], v[232:235]// 00000000A84C: D3D700E8 0FA31198
	buffer_load_dwordx4 a[20:23], v43, s[12:15], 0 offen offset:1024// 00000000A854: E05C1400 8083142B
	v_mfma_i32_16x16x32_i8 v[232:235], a[154:155], v[138:139], v[232:235]// 00000000A85C: D3D700E8 0FA3159A
	v_mfma_i32_16x16x32_i8 v[232:235], a[156:157], v[140:141], v[232:235]// 00000000A864: D3D700E8 0FA3199C
	v_mfma_i32_16x16x32_i8 v[232:235], a[158:159], v[142:143], v[232:235]// 00000000A86C: D3D700E8 0FA31D9E
	v_mfma_i32_16x16x32_i8 v[236:239], a[144:145], v[160:161], 0// 00000000A874: D3D700EC 0A034190
	buffer_load_dwordx4 a[24:27], v43, s[12:15], 0 offen offset:2048// 00000000A87C: E05C1800 8083182B
	v_mfma_i32_16x16x32_i8 v[236:239], a[146:147], v[162:163], v[236:239]// 00000000A884: D3D700EC 0FB34592
	v_mfma_i32_16x16x32_i8 v[236:239], a[148:149], v[164:165], v[236:239]// 00000000A88C: D3D700EC 0FB34994
	v_mfma_i32_16x16x32_i8 v[236:239], a[150:151], v[166:167], v[236:239]// 00000000A894: D3D700EC 0FB34D96
	v_mfma_i32_16x16x32_i8 v[236:239], a[152:153], v[168:169], v[236:239]// 00000000A89C: D3D700EC 0FB35198
	buffer_load_dwordx4 a[28:31], v43, s[12:15], 0 offen offset:3072// 00000000A8A4: E05C1C00 80831C2B
	v_mfma_i32_16x16x32_i8 v[236:239], a[154:155], v[170:171], v[236:239]// 00000000A8AC: D3D700EC 0FB3559A
	v_mfma_i32_16x16x32_i8 v[236:239], a[156:157], v[172:173], v[236:239]// 00000000A8B4: D3D700EC 0FB3599C
	v_mfma_i32_16x16x32_i8 v[236:239], a[158:159], v[174:175], v[236:239]// 00000000A8BC: D3D700EC 0FB35D9E
	s_waitcnt vmcnt(25)                                        // 00000000A8C4: BF8C4F79
	v_mfma_i32_16x16x32_i8 v[240:243], a[160:161], v[128:129], 0// 00000000A8C8: D3D700F0 0A0301A0
	buffer_load_dwordx4 a[32:35], v44, s[12:15], 0 offen       // 00000000A8D0: E05C1000 8083202C
	v_mfma_i32_16x16x32_i8 v[240:243], a[162:163], v[130:131], v[240:243]// 00000000A8D8: D3D700F0 0FC305A2
	v_mfma_i32_16x16x32_i8 v[240:243], a[164:165], v[132:133], v[240:243]// 00000000A8E0: D3D700F0 0FC309A4
	v_mfma_i32_16x16x32_i8 v[240:243], a[166:167], v[134:135], v[240:243]// 00000000A8E8: D3D700F0 0FC30DA6
	v_mfma_i32_16x16x32_i8 v[240:243], a[168:169], v[136:137], v[240:243]// 00000000A8F0: D3D700F0 0FC311A8
	buffer_load_dwordx4 a[36:39], v44, s[12:15], 0 offen offset:1024// 00000000A8F8: E05C1400 8083242C
	v_mfma_i32_16x16x32_i8 v[240:243], a[170:171], v[138:139], v[240:243]// 00000000A900: D3D700F0 0FC315AA
	v_mfma_i32_16x16x32_i8 v[240:243], a[172:173], v[140:141], v[240:243]// 00000000A908: D3D700F0 0FC319AC
	v_mfma_i32_16x16x32_i8 v[240:243], a[174:175], v[142:143], v[240:243]// 00000000A910: D3D700F0 0FC31DAE
	v_mfma_i32_16x16x32_i8 v[244:247], a[160:161], v[160:161], 0// 00000000A918: D3D700F4 0A0341A0
	buffer_load_dwordx4 a[40:43], v44, s[12:15], 0 offen offset:2048// 00000000A920: E05C1800 8083282C
	v_mfma_i32_16x16x32_i8 v[244:247], a[162:163], v[162:163], v[244:247]// 00000000A928: D3D700F4 0FD345A2
	v_mfma_i32_16x16x32_i8 v[244:247], a[164:165], v[164:165], v[244:247]// 00000000A930: D3D700F4 0FD349A4
	v_mfma_i32_16x16x32_i8 v[244:247], a[166:167], v[166:167], v[244:247]// 00000000A938: D3D700F4 0FD34DA6
	v_mfma_i32_16x16x32_i8 v[244:247], a[168:169], v[168:169], v[244:247]// 00000000A940: D3D700F4 0FD351A8
	buffer_load_dwordx4 a[44:47], v44, s[12:15], 0 offen offset:3072// 00000000A948: E05C1C00 80832C2C
	v_mfma_i32_16x16x32_i8 v[244:247], a[170:171], v[170:171], v[244:247]// 00000000A950: D3D700F4 0FD355AA
	v_mfma_i32_16x16x32_i8 v[244:247], a[172:173], v[172:173], v[244:247]// 00000000A958: D3D700F4 0FD359AC
	v_mfma_i32_16x16x32_i8 v[244:247], a[174:175], v[174:175], v[244:247]// 00000000A960: D3D700F4 0FD35DAE
	v_mfma_i32_16x16x32_i8 v[248:251], a[176:177], v[128:129], 0// 00000000A968: D3D700F8 0A0301B0
	buffer_load_dwordx4 a[48:51], v45, s[12:15], 0 offen       // 00000000A970: E05C1000 8083302D
	v_mfma_i32_16x16x32_i8 v[248:251], a[178:179], v[130:131], v[248:251]// 00000000A978: D3D700F8 0FE305B2
	v_mfma_i32_16x16x32_i8 v[248:251], a[180:181], v[132:133], v[248:251]// 00000000A980: D3D700F8 0FE309B4
	v_mfma_i32_16x16x32_i8 v[248:251], a[182:183], v[134:135], v[248:251]// 00000000A988: D3D700F8 0FE30DB6
	v_mfma_i32_16x16x32_i8 v[248:251], a[184:185], v[136:137], v[248:251]// 00000000A990: D3D700F8 0FE311B8
	buffer_load_dwordx4 a[52:55], v45, s[12:15], 0 offen offset:1024// 00000000A998: E05C1400 8083342D
	v_mfma_i32_16x16x32_i8 v[248:251], a[186:187], v[138:139], v[248:251]// 00000000A9A0: D3D700F8 0FE315BA
	v_mfma_i32_16x16x32_i8 v[248:251], a[188:189], v[140:141], v[248:251]// 00000000A9A8: D3D700F8 0FE319BC
	v_mfma_i32_16x16x32_i8 v[248:251], a[190:191], v[142:143], v[248:251]// 00000000A9B0: D3D700F8 0FE31DBE
	v_mfma_i32_16x16x32_i8 v[252:255], a[176:177], v[160:161], 0// 00000000A9B8: D3D700FC 0A0341B0
	buffer_load_dwordx4 a[56:59], v45, s[12:15], 0 offen offset:2048// 00000000A9C0: E05C1800 8083382D
	v_mfma_i32_16x16x32_i8 v[252:255], a[178:179], v[162:163], v[252:255]// 00000000A9C8: D3D700FC 0FF345B2
	v_mfma_i32_16x16x32_i8 v[252:255], a[180:181], v[164:165], v[252:255]// 00000000A9D0: D3D700FC 0FF349B4
	v_mfma_i32_16x16x32_i8 v[252:255], a[182:183], v[166:167], v[252:255]// 00000000A9D8: D3D700FC 0FF34DB6
	v_mfma_i32_16x16x32_i8 v[252:255], a[184:185], v[168:169], v[252:255]// 00000000A9E0: D3D700FC 0FF351B8
	buffer_load_dwordx4 a[60:63], v45, s[12:15], 0 offen offset:3072// 00000000A9E8: E05C1C00 80833C2D
	s_add_u32 s12, s78, s12                                    // 00000000A9F0: 800C0C4E
	s_addc_u32 s13, 0, s13                                     // 00000000A9F4: 820D0D80
	v_mfma_i32_16x16x32_i8 v[252:255], a[186:187], v[170:171], v[252:255]// 00000000A9F8: D3D700FC 0FF355BA
	v_mfma_i32_16x16x32_i8 v[252:255], a[188:189], v[172:173], v[252:255]// 00000000AA00: D3D700FC 0FF359BC
	v_mfma_i32_16x16x32_i8 v[252:255], a[190:191], v[174:175], v[252:255]// 00000000AA08: D3D700FC 0FF35DBE
	s_waitcnt vmcnt(25)                                        // 00000000AA10: BF8C4F79
	v_mfma_i32_16x16x32_i8 v[224:227], a[192:193], v[144:145], v[224:227]// 00000000AA14: D3D700E0 0F8321C0
	buffer_load_dwordx4 a[64:67], v42, s[12:15], 0 offen       // 00000000AA1C: E05C1000 8083402A
	v_mfma_i32_16x16x32_i8 v[224:227], a[194:195], v[146:147], v[224:227]// 00000000AA24: D3D700E0 0F8325C2
	ds_write_b64 v3, v[192:193] offset:18688                   // 00000000AA2C: D89A4900 0000C003
	v_mfma_i32_16x16x32_i8 v[224:227], a[196:197], v[148:149], v[224:227]// 00000000AA34: D3D700E0 0F8329C4
	v_mfma_i32_16x16x32_i8 v[224:227], a[198:199], v[150:151], v[224:227]// 00000000AA3C: D3D700E0 0F832DC6
	ds_write_b64 v3, v[194:195] offset:27392                   // 00000000AA44: D89A6B00 0000C203
	v_mfma_i32_16x16x32_i8 v[224:227], a[200:201], v[152:153], v[224:227]// 00000000AA4C: D3D700E0 0F8331C8
	buffer_load_dwordx4 a[68:71], v42, s[12:15], 0 offen offset:1024// 00000000AA54: E05C1400 8083442A
	v_mfma_i32_16x16x32_i8 v[224:227], a[202:203], v[154:155], v[224:227]// 00000000AA5C: D3D700E0 0F8335CA
	ds_write_b64 v3, v[196:197] offset:20864                   // 00000000AA64: D89A5180 0000C403
	v_mfma_i32_16x16x32_i8 v[224:227], a[204:205], v[156:157], v[224:227]// 00000000AA6C: D3D700E0 0F8339CC
	v_mfma_i32_16x16x32_i8 v[224:227], a[206:207], v[158:159], v[224:227]// 00000000AA74: D3D700E0 0F833DCE
	ds_write_b64 v3, v[198:199] offset:29568                   // 00000000AA7C: D89A7380 0000C603
	v_mfma_i32_16x16x32_i8 v[228:231], a[192:193], v[176:177], v[228:231]// 00000000AA84: D3D700E4 0F9361C0
	buffer_load_dwordx4 a[72:75], v42, s[12:15], 0 offen offset:2048// 00000000AA8C: E05C1800 8083482A
	v_mfma_i32_16x16x32_i8 v[228:231], a[194:195], v[178:179], v[228:231]// 00000000AA94: D3D700E4 0F9365C2
	ds_write_b64 v3, v[200:201] offset:23040                   // 00000000AA9C: D89A5A00 0000C803
	v_mfma_i32_16x16x32_i8 v[228:231], a[196:197], v[180:181], v[228:231]// 00000000AAA4: D3D700E4 0F9369C4
	v_mfma_i32_16x16x32_i8 v[228:231], a[198:199], v[182:183], v[228:231]// 00000000AAAC: D3D700E4 0F936DC6
	ds_write_b64 v3, v[202:203] offset:31744                   // 00000000AAB4: D89A7C00 0000CA03
	v_mfma_i32_16x16x32_i8 v[228:231], a[200:201], v[184:185], v[228:231]// 00000000AABC: D3D700E4 0F9371C8
	buffer_load_dwordx4 a[76:79], v42, s[12:15], 0 offen offset:3072// 00000000AAC4: E05C1C00 80834C2A
	v_mfma_i32_16x16x32_i8 v[228:231], a[202:203], v[186:187], v[228:231]// 00000000AACC: D3D700E4 0F9375CA
	ds_write_b64 v3, v[204:205] offset:25216                   // 00000000AAD4: D89A6280 0000CC03
	v_mfma_i32_16x16x32_i8 v[228:231], a[204:205], v[188:189], v[228:231]// 00000000AADC: D3D700E4 0F9379CC
	v_mfma_i32_16x16x32_i8 v[228:231], a[206:207], v[190:191], v[228:231]// 00000000AAE4: D3D700E4 0F937DCE
	ds_write_b64 v3, v[206:207] offset:33920                   // 00000000AAEC: D89A8480 0000CE03
	v_mfma_i32_16x16x32_i8 v[232:235], a[208:209], v[144:145], v[232:235]// 00000000AAF4: D3D700E8 0FA321D0
	buffer_load_dwordx4 a[80:83], v43, s[12:15], 0 offen       // 00000000AAFC: E05C1000 8083502B
	v_mfma_i32_16x16x32_i8 v[232:235], a[210:211], v[146:147], v[232:235]// 00000000AB04: D3D700E8 0FA325D2
	v_mfma_i32_16x16x32_i8 v[232:235], a[212:213], v[148:149], v[232:235]// 00000000AB0C: D3D700E8 0FA329D4
	v_mfma_i32_16x16x32_i8 v[232:235], a[214:215], v[150:151], v[232:235]// 00000000AB14: D3D700E8 0FA32DD6
	v_mfma_i32_16x16x32_i8 v[232:235], a[216:217], v[152:153], v[232:235]// 00000000AB1C: D3D700E8 0FA331D8
	buffer_load_dwordx4 a[84:87], v43, s[12:15], 0 offen offset:1024// 00000000AB24: E05C1400 8083542B
	v_mfma_i32_16x16x32_i8 v[232:235], a[218:219], v[154:155], v[232:235]// 00000000AB2C: D3D700E8 0FA335DA
	v_mfma_i32_16x16x32_i8 v[232:235], a[220:221], v[156:157], v[232:235]// 00000000AB34: D3D700E8 0FA339DC
	v_mfma_i32_16x16x32_i8 v[232:235], a[222:223], v[158:159], v[232:235]// 00000000AB3C: D3D700E8 0FA33DDE
	v_mfma_i32_16x16x32_i8 v[236:239], a[208:209], v[176:177], v[236:239]// 00000000AB44: D3D700EC 0FB361D0
	buffer_load_dwordx4 a[88:91], v43, s[12:15], 0 offen offset:2048// 00000000AB4C: E05C1800 8083582B
	v_mfma_i32_16x16x32_i8 v[236:239], a[210:211], v[178:179], v[236:239]// 00000000AB54: D3D700EC 0FB365D2
	v_mfma_i32_16x16x32_i8 v[236:239], a[212:213], v[180:181], v[236:239]// 00000000AB5C: D3D700EC 0FB369D4
	v_mfma_i32_16x16x32_i8 v[236:239], a[214:215], v[182:183], v[236:239]// 00000000AB64: D3D700EC 0FB36DD6
	v_mfma_i32_16x16x32_i8 v[236:239], a[216:217], v[184:185], v[236:239]// 00000000AB6C: D3D700EC 0FB371D8
	buffer_load_dwordx4 a[92:95], v43, s[12:15], 0 offen offset:3072// 00000000AB74: E05C1C00 80835C2B
	v_mfma_i32_16x16x32_i8 v[236:239], a[218:219], v[186:187], v[236:239]// 00000000AB7C: D3D700EC 0FB375DA
	v_mfma_i32_16x16x32_i8 v[236:239], a[220:221], v[188:189], v[236:239]// 00000000AB84: D3D700EC 0FB379DC
	v_mfma_i32_16x16x32_i8 v[236:239], a[222:223], v[190:191], v[236:239]// 00000000AB8C: D3D700EC 0FB37DDE
	s_waitcnt vmcnt(24)                                        // 00000000AB94: BF8C4F78
	v_mfma_i32_16x16x32_i8 v[240:243], a[224:225], v[144:145], v[240:243]// 00000000AB98: D3D700F0 0FC321E0
	buffer_load_dwordx4 a[96:99], v44, s[12:15], 0 offen       // 00000000ABA0: E05C1000 8083602C
	v_mfma_i32_16x16x32_i8 v[240:243], a[226:227], v[146:147], v[240:243]// 00000000ABA8: D3D700F0 0FC325E2
	v_mfma_i32_16x16x32_i8 v[240:243], a[228:229], v[148:149], v[240:243]// 00000000ABB0: D3D700F0 0FC329E4
	buffer_load_dword v12, v5, s[16:19], 0 offen               // 00000000ABB8: E0501000 80040C05
	v_mfma_i32_16x16x32_i8 v[240:243], a[230:231], v[150:151], v[240:243]// 00000000ABC0: D3D700F0 0FC32DE6
	v_mfma_i32_16x16x32_i8 v[240:243], a[232:233], v[152:153], v[240:243]// 00000000ABC8: D3D700F0 0FC331E8
	buffer_load_dwordx4 a[100:103], v44, s[12:15], 0 offen offset:1024// 00000000ABD0: E05C1400 8083642C
	v_mfma_i32_16x16x32_i8 v[240:243], a[234:235], v[154:155], v[240:243]// 00000000ABD8: D3D700F0 0FC335EA
	v_mfma_i32_16x16x32_i8 v[240:243], a[236:237], v[156:157], v[240:243]// 00000000ABE0: D3D700F0 0FC339EC
	v_mfma_i32_16x16x32_i8 v[240:243], a[238:239], v[158:159], v[240:243]// 00000000ABE8: D3D700F0 0FC33DEE
	v_mfma_i32_16x16x32_i8 v[244:247], a[224:225], v[176:177], v[244:247]// 00000000ABF0: D3D700F4 0FD361E0
	buffer_load_dwordx4 a[104:107], v44, s[12:15], 0 offen offset:2048// 00000000ABF8: E05C1800 8083682C
	v_mfma_i32_16x16x32_i8 v[244:247], a[226:227], v[178:179], v[244:247]// 00000000AC00: D3D700F4 0FD365E2
	v_mfma_i32_16x16x32_i8 v[244:247], a[228:229], v[180:181], v[244:247]// 00000000AC08: D3D700F4 0FD369E4
	s_add_u32 s60, 0x200, s80                                  // 00000000AC10: 803C50FF 00000200
	s_cmp_lt_u32 s60, s81                                      // 00000000AC18: BF0A513C
	v_mfma_i32_16x16x32_i8 v[244:247], a[230:231], v[182:183], v[244:247]// 00000000AC1C: D3D700F4 0FD36DE6
	s_cselect_b32 s56, s56, 0                                  // 00000000AC24: 85388038
	s_cselect_b32 s78, s78, 0                                  // 00000000AC28: 854E804E
	s_cselect_b32 s79, s79, 0                                  // 00000000AC2C: 854F804F
	v_mfma_i32_16x16x32_i8 v[244:247], a[232:233], v[184:185], v[244:247]// 00000000AC30: D3D700F4 0FD371E8
	buffer_load_dwordx4 a[108:111], v44, s[12:15], 0 offen offset:3072// 00000000AC38: E05C1C00 80836C2C
	v_mfma_i32_16x16x32_i8 v[244:247], a[234:235], v[186:187], v[244:247]// 00000000AC40: D3D700F4 0FD375EA
	v_mfma_i32_16x16x32_i8 v[244:247], a[236:237], v[188:189], v[244:247]// 00000000AC48: D3D700F4 0FD379EC
	s_add_u32 s16, s79, s16                                    // 00000000AC50: 8010104F
	s_addc_u32 s17, 0, s17                                     // 00000000AC54: 82111180
	v_mfma_i32_16x16x32_i8 v[244:247], a[238:239], v[190:191], v[244:247]// 00000000AC58: D3D700F4 0FD37DEE
	v_mfma_i32_16x16x32_i8 v[248:251], a[240:241], v[144:145], v[248:251]// 00000000AC60: D3D700F8 0FE321F0
	buffer_load_dwordx4 a[112:115], v45, s[12:15], 0 offen     // 00000000AC68: E05C1000 8083702D
	v_mfma_i32_16x16x32_i8 v[248:251], a[242:243], v[146:147], v[248:251]// 00000000AC70: D3D700F8 0FE325F2
	v_mfma_i32_16x16x32_i8 v[248:251], a[244:245], v[148:149], v[248:251]// 00000000AC78: D3D700F8 0FE329F4
	v_mfma_i32_16x16x32_i8 v[248:251], a[246:247], v[150:151], v[248:251]// 00000000AC80: D3D700F8 0FE32DF6
	v_mfma_i32_16x16x32_i8 v[248:251], a[248:249], v[152:153], v[248:251]// 00000000AC88: D3D700F8 0FE331F8
	buffer_load_dwordx4 a[116:119], v45, s[12:15], 0 offen offset:1024// 00000000AC90: E05C1400 8083742D
	v_mfma_i32_16x16x32_i8 v[248:251], a[250:251], v[154:155], v[248:251]// 00000000AC98: D3D700F8 0FE335FA
	v_mfma_i32_16x16x32_i8 v[248:251], a[252:253], v[156:157], v[248:251]// 00000000ACA0: D3D700F8 0FE339FC
	v_mfma_i32_16x16x32_i8 v[248:251], a[254:255], v[158:159], v[248:251]// 00000000ACA8: D3D700F8 0FE33DFE
	v_mfma_i32_16x16x32_i8 v[252:255], a[240:241], v[176:177], v[252:255]// 00000000ACB0: D3D700FC 0FF361F0
	buffer_load_dwordx4 a[120:123], v45, s[12:15], 0 offen offset:2048// 00000000ACB8: E05C1800 8083782D
	v_mfma_i32_16x16x32_i8 v[252:255], a[242:243], v[178:179], v[252:255]// 00000000ACC0: D3D700FC 0FF365F2
	v_mfma_i32_16x16x32_i8 v[252:255], a[244:245], v[180:181], v[252:255]// 00000000ACC8: D3D700FC 0FF369F4
	v_mfma_i32_16x16x32_i8 v[252:255], a[246:247], v[182:183], v[252:255]// 00000000ACD0: D3D700FC 0FF36DF6
	v_mfma_i32_16x16x32_i8 v[252:255], a[248:249], v[184:185], v[252:255]// 00000000ACD8: D3D700FC 0FF371F8
	buffer_load_dwordx4 a[124:127], v45, s[12:15], 0 offen offset:3072// 00000000ACE0: E05C1C00 80837C2D
	v_mfma_i32_16x16x32_i8 v[252:255], a[250:251], v[186:187], v[252:255]// 00000000ACE8: D3D700FC 0FF375FA
	v_mfma_i32_16x16x32_i8 v[252:255], a[252:253], v[188:189], v[252:255]// 00000000ACF0: D3D700FC 0FF379FC
	s_add_u32 s12, s56, s12                                    // 00000000ACF8: 800C0C38
	s_addc_u32 s13, 0, s13                                     // 00000000ACFC: 820D0D80
	v_mfma_i32_16x16x32_i8 v[252:255], a[254:255], v[190:191], v[252:255]// 00000000AD00: D3D700FC 0FF37DFE
	v_mov_b32_e32 v96, v24                                     // 00000000AD08: 7EC00318
	v_mov_b32_e32 v100, v20                                    // 00000000AD0C: 7EC80314
	v_mov_b32_e32 v97, v24                                     // 00000000AD10: 7EC20318
	v_mov_b32_e32 v101, v20                                    // 00000000AD14: 7ECA0314
	v_mov_b32_e32 v98, v25                                     // 00000000AD18: 7EC40319
	v_mov_b32_e32 v102, v21                                    // 00000000AD1C: 7ECC0315
	v_mov_b32_e32 v99, v25                                     // 00000000AD20: 7EC60319
	v_mov_b32_e32 v103, v21                                    // 00000000AD24: 7ECE0315
	v_cvt_f32_i32_e32 v224, v224                               // 00000000AD28: 7FC00BE0
	v_cvt_f32_i32_e32 v225, v225                               // 00000000AD2C: 7FC20BE1
	v_cvt_f32_i32_e32 v226, v226                               // 00000000AD30: 7FC40BE2
	v_cvt_f32_i32_e32 v227, v227                               // 00000000AD34: 7FC60BE3
	v_pk_mul_f32 v[224:225], v[96:97], v[224:225]              // 00000000AD38: D3B140E0 1803C160
	v_pk_mul_f32 v[226:227], v[96:97], v[226:227]              // 00000000AD40: D3B140E2 1803C560
	v_mul_f32_dpp v224, v13, v224 row_newbcast:0 row_mask:0xf bank_mask:0xf// 00000000AD48: 0BC1C0FA FF01500D
	v_mul_f32_dpp v225, v13, v225 row_newbcast:1 row_mask:0xf bank_mask:0xf// 00000000AD50: 0BC3C2FA FF01510D
	v_mul_f32_dpp v226, v13, v226 row_newbcast:2 row_mask:0xf bank_mask:0xf// 00000000AD58: 0BC5C4FA FF01520D
	v_mul_f32_dpp v227, v13, v227 row_newbcast:3 row_mask:0xf bank_mask:0xf// 00000000AD60: 0BC7C6FA FF01530D
	v_pk_mul_f32 v[224:225], v[100:101], v[224:225]            // 00000000AD68: D3B140E0 1803C164
	v_pk_mul_f32 v[226:227], v[100:101], v[226:227]            // 00000000AD70: D3B140E2 1803C564
	v_cvt_f32_i32_e32 v228, v228                               // 00000000AD78: 7FC80BE4
	v_cvt_f32_i32_e32 v229, v229                               // 00000000AD7C: 7FCA0BE5
	v_cvt_f32_i32_e32 v230, v230                               // 00000000AD80: 7FCC0BE6
	v_cvt_f32_i32_e32 v231, v231                               // 00000000AD84: 7FCE0BE7
	v_pk_mul_f32 v[228:229], v[98:99], v[228:229]              // 00000000AD88: D3B140E4 1803C962
	v_pk_mul_f32 v[230:231], v[98:99], v[230:231]              // 00000000AD90: D3B140E6 1803CD62
	v_mul_f32_dpp v228, v13, v228 row_newbcast:0 row_mask:0xf bank_mask:0xf// 00000000AD98: 0BC9C8FA FF01500D
	v_mul_f32_dpp v229, v13, v229 row_newbcast:1 row_mask:0xf bank_mask:0xf// 00000000ADA0: 0BCBCAFA FF01510D
	v_mul_f32_dpp v230, v13, v230 row_newbcast:2 row_mask:0xf bank_mask:0xf// 00000000ADA8: 0BCDCCFA FF01520D
	v_mul_f32_dpp v231, v13, v231 row_newbcast:3 row_mask:0xf bank_mask:0xf// 00000000ADB0: 0BCFCEFA FF01530D
	v_pk_mul_f32 v[228:229], v[102:103], v[228:229]            // 00000000ADB8: D3B140E4 1803C966
	v_pk_mul_f32 v[230:231], v[102:103], v[230:231]            // 00000000ADC0: D3B140E6 1803CD66
	v_cvt_f32_i32_e32 v232, v232                               // 00000000ADC8: 7FD00BE8
	v_cvt_f32_i32_e32 v233, v233                               // 00000000ADCC: 7FD20BE9
	v_cvt_f32_i32_e32 v234, v234                               // 00000000ADD0: 7FD40BEA
	v_cvt_f32_i32_e32 v235, v235                               // 00000000ADD4: 7FD60BEB
	v_pk_mul_f32 v[232:233], v[96:97], v[232:233]              // 00000000ADD8: D3B140E8 1803D160
	v_pk_mul_f32 v[234:235], v[96:97], v[234:235]              // 00000000ADE0: D3B140EA 1803D560
	v_mul_f32_dpp v232, v13, v232 row_newbcast:4 row_mask:0xf bank_mask:0xf// 00000000ADE8: 0BD1D0FA FF01540D
	v_mul_f32_dpp v233, v13, v233 row_newbcast:5 row_mask:0xf bank_mask:0xf// 00000000ADF0: 0BD3D2FA FF01550D
	v_mul_f32_dpp v234, v13, v234 row_newbcast:6 row_mask:0xf bank_mask:0xf// 00000000ADF8: 0BD5D4FA FF01560D
	v_mul_f32_dpp v235, v13, v235 row_newbcast:7 row_mask:0xf bank_mask:0xf// 00000000AE00: 0BD7D6FA FF01570D
	v_pk_mul_f32 v[232:233], v[100:101], v[232:233]            // 00000000AE08: D3B140E8 1803D164
	v_pk_mul_f32 v[234:235], v[100:101], v[234:235]            // 00000000AE10: D3B140EA 1803D564
	v_cvt_f32_i32_e32 v236, v236                               // 00000000AE18: 7FD80BEC
	v_cvt_f32_i32_e32 v237, v237                               // 00000000AE1C: 7FDA0BED
	v_cvt_f32_i32_e32 v238, v238                               // 00000000AE20: 7FDC0BEE
	v_cvt_f32_i32_e32 v239, v239                               // 00000000AE24: 7FDE0BEF
	v_pk_mul_f32 v[236:237], v[98:99], v[236:237]              // 00000000AE28: D3B140EC 1803D962
	v_pk_mul_f32 v[238:239], v[98:99], v[238:239]              // 00000000AE30: D3B140EE 1803DD62
	v_mul_f32_dpp v236, v13, v236 row_newbcast:4 row_mask:0xf bank_mask:0xf// 00000000AE38: 0BD9D8FA FF01540D
	v_mul_f32_dpp v237, v13, v237 row_newbcast:5 row_mask:0xf bank_mask:0xf// 00000000AE40: 0BDBDAFA FF01550D
	v_mul_f32_dpp v238, v13, v238 row_newbcast:6 row_mask:0xf bank_mask:0xf// 00000000AE48: 0BDDDCFA FF01560D
	v_mul_f32_dpp v239, v13, v239 row_newbcast:7 row_mask:0xf bank_mask:0xf// 00000000AE50: 0BDFDEFA FF01570D
	v_pk_mul_f32 v[236:237], v[102:103], v[236:237]            // 00000000AE58: D3B140EC 1803D966
	v_pk_mul_f32 v[238:239], v[102:103], v[238:239]            // 00000000AE60: D3B140EE 1803DD66
	v_cvt_f32_i32_e32 v240, v240                               // 00000000AE68: 7FE00BF0
	v_cvt_f32_i32_e32 v241, v241                               // 00000000AE6C: 7FE20BF1
	v_cvt_f32_i32_e32 v242, v242                               // 00000000AE70: 7FE40BF2
	v_cvt_f32_i32_e32 v243, v243                               // 00000000AE74: 7FE60BF3
	v_pk_mul_f32 v[240:241], v[96:97], v[240:241]              // 00000000AE78: D3B140F0 1803E160
	v_pk_mul_f32 v[242:243], v[96:97], v[242:243]              // 00000000AE80: D3B140F2 1803E560
	v_mul_f32_dpp v240, v13, v240 row_newbcast:8 row_mask:0xf bank_mask:0xf// 00000000AE88: 0BE1E0FA FF01580D
	v_mul_f32_dpp v241, v13, v241 row_newbcast:9 row_mask:0xf bank_mask:0xf// 00000000AE90: 0BE3E2FA FF01590D
	v_mul_f32_dpp v242, v13, v242 row_newbcast:10 row_mask:0xf bank_mask:0xf// 00000000AE98: 0BE5E4FA FF015A0D
	v_mul_f32_dpp v243, v13, v243 row_newbcast:11 row_mask:0xf bank_mask:0xf// 00000000AEA0: 0BE7E6FA FF015B0D
	v_pk_mul_f32 v[240:241], v[100:101], v[240:241]            // 00000000AEA8: D3B140F0 1803E164
	v_pk_mul_f32 v[242:243], v[100:101], v[242:243]            // 00000000AEB0: D3B140F2 1803E564
	v_cvt_f32_i32_e32 v244, v244                               // 00000000AEB8: 7FE80BF4
	v_cvt_f32_i32_e32 v245, v245                               // 00000000AEBC: 7FEA0BF5
	v_cvt_f32_i32_e32 v246, v246                               // 00000000AEC0: 7FEC0BF6
	v_cvt_f32_i32_e32 v247, v247                               // 00000000AEC4: 7FEE0BF7
	v_pk_mul_f32 v[244:245], v[98:99], v[244:245]              // 00000000AEC8: D3B140F4 1803E962
	v_pk_mul_f32 v[246:247], v[98:99], v[246:247]              // 00000000AED0: D3B140F6 1803ED62
	v_mul_f32_dpp v244, v13, v244 row_newbcast:8 row_mask:0xf bank_mask:0xf// 00000000AED8: 0BE9E8FA FF01580D
	v_mul_f32_dpp v245, v13, v245 row_newbcast:9 row_mask:0xf bank_mask:0xf// 00000000AEE0: 0BEBEAFA FF01590D
	v_mul_f32_dpp v246, v13, v246 row_newbcast:10 row_mask:0xf bank_mask:0xf// 00000000AEE8: 0BEDECFA FF015A0D
	v_mul_f32_dpp v247, v13, v247 row_newbcast:11 row_mask:0xf bank_mask:0xf// 00000000AEF0: 0BEFEEFA FF015B0D
	v_pk_mul_f32 v[244:245], v[102:103], v[244:245]            // 00000000AEF8: D3B140F4 1803E966
	v_pk_mul_f32 v[246:247], v[102:103], v[246:247]            // 00000000AF00: D3B140F6 1803ED66
	v_cvt_f32_i32_e32 v248, v248                               // 00000000AF08: 7FF00BF8
	v_cvt_f32_i32_e32 v249, v249                               // 00000000AF0C: 7FF20BF9
	v_cvt_f32_i32_e32 v250, v250                               // 00000000AF10: 7FF40BFA
	v_cvt_f32_i32_e32 v251, v251                               // 00000000AF14: 7FF60BFB
	v_pk_mul_f32 v[248:249], v[96:97], v[248:249]              // 00000000AF18: D3B140F8 1803F160
	v_pk_mul_f32 v[250:251], v[96:97], v[250:251]              // 00000000AF20: D3B140FA 1803F560
	v_mul_f32_dpp v248, v13, v248 row_newbcast:12 row_mask:0xf bank_mask:0xf// 00000000AF28: 0BF1F0FA FF015C0D
	v_mul_f32_dpp v249, v13, v249 row_newbcast:13 row_mask:0xf bank_mask:0xf// 00000000AF30: 0BF3F2FA FF015D0D
	v_mul_f32_dpp v250, v13, v250 row_newbcast:14 row_mask:0xf bank_mask:0xf// 00000000AF38: 0BF5F4FA FF015E0D
	v_mul_f32_dpp v251, v13, v251 row_newbcast:15 row_mask:0xf bank_mask:0xf// 00000000AF40: 0BF7F6FA FF015F0D
	v_pk_mul_f32 v[248:249], v[100:101], v[248:249]            // 00000000AF48: D3B140F8 1803F164
	v_pk_mul_f32 v[250:251], v[100:101], v[250:251]            // 00000000AF50: D3B140FA 1803F564
	v_cvt_f32_i32_e32 v252, v252                               // 00000000AF58: 7FF80BFC
	v_cvt_f32_i32_e32 v253, v253                               // 00000000AF5C: 7FFA0BFD
	v_cvt_f32_i32_e32 v254, v254                               // 00000000AF60: 7FFC0BFE
	v_cvt_f32_i32_e32 v255, v255                               // 00000000AF64: 7FFE0BFF
	v_pk_mul_f32 v[252:253], v[98:99], v[252:253]              // 00000000AF68: D3B140FC 1803F962
	v_pk_mul_f32 v[254:255], v[98:99], v[254:255]              // 00000000AF70: D3B140FE 1803FD62
	v_mul_f32_dpp v252, v13, v252 row_newbcast:12 row_mask:0xf bank_mask:0xf// 00000000AF78: 0BF9F8FA FF015C0D
	v_mul_f32_dpp v253, v13, v253 row_newbcast:13 row_mask:0xf bank_mask:0xf// 00000000AF80: 0BFBFAFA FF015D0D
	v_mul_f32_dpp v254, v13, v254 row_newbcast:14 row_mask:0xf bank_mask:0xf// 00000000AF88: 0BFDFCFA FF015E0D
	v_mul_f32_dpp v255, v13, v255 row_newbcast:15 row_mask:0xf bank_mask:0xf// 00000000AF90: 0BFFFEFA FF015F0D
	v_pk_mul_f32 v[252:253], v[102:103], v[252:253]            // 00000000AF98: D3B140FC 1803F966
	v_pk_mul_f32 v[254:255], v[102:103], v[254:255]            // 00000000AFA0: D3B140FE 1803FD66
	v_cmp_u_f32_e64 s[48:49], v224, v224                       // 00000000AFA8: D0480030 0003C1E0
	v_add3_u32 v50, v224, v53, 1                               // 00000000AFB0: D1FF0032 02066BE0
	v_cndmask_b32_e64 v54, v50, v52, s[48:49]                  // 00000000AFB8: D1000036 00C26932
	v_cmp_u_f32_e64 s[48:49], v225, v225                       // 00000000AFC0: D0480030 0003C3E1
	v_add3_u32 v50, v225, v53, 1                               // 00000000AFC8: D1FF0032 02066BE1
	v_cndmask_b32_e64 v55, v50, v52, s[48:49]                  // 00000000AFD0: D1000037 00C26932
	v_perm_b32 v224, v55, v54, s52                             // 00000000AFD8: D1ED00E0 00D26D37
	v_cmp_u_f32_e64 s[48:49], v226, v226                       // 00000000AFE0: D0480030 0003C5E2
	v_add3_u32 v50, v226, v53, 1                               // 00000000AFE8: D1FF0032 02066BE2
	v_cndmask_b32_e64 v54, v50, v52, s[48:49]                  // 00000000AFF0: D1000036 00C26932
	v_cmp_u_f32_e64 s[48:49], v227, v227                       // 00000000AFF8: D0480030 0003C7E3
	v_add3_u32 v50, v227, v53, 1                               // 00000000B000: D1FF0032 02066BE3
	v_cndmask_b32_e64 v55, v50, v52, s[48:49]                  // 00000000B008: D1000037 00C26932
	v_perm_b32 v225, v55, v54, s52                             // 00000000B010: D1ED00E1 00D26D37
	v_cmp_u_f32_e64 s[48:49], v228, v228                       // 00000000B018: D0480030 0003C9E4
	v_add3_u32 v50, v228, v53, 1                               // 00000000B020: D1FF0032 02066BE4
	v_cndmask_b32_e64 v54, v50, v52, s[48:49]                  // 00000000B028: D1000036 00C26932
	v_cmp_u_f32_e64 s[48:49], v229, v229                       // 00000000B030: D0480030 0003CBE5
	v_add3_u32 v50, v229, v53, 1                               // 00000000B038: D1FF0032 02066BE5
	v_cndmask_b32_e64 v55, v50, v52, s[48:49]                  // 00000000B040: D1000037 00C26932
	v_perm_b32 v226, v55, v54, s52                             // 00000000B048: D1ED00E2 00D26D37
	v_cmp_u_f32_e64 s[48:49], v230, v230                       // 00000000B050: D0480030 0003CDE6
	v_add3_u32 v50, v230, v53, 1                               // 00000000B058: D1FF0032 02066BE6
	v_cndmask_b32_e64 v54, v50, v52, s[48:49]                  // 00000000B060: D1000036 00C26932
	v_cmp_u_f32_e64 s[48:49], v231, v231                       // 00000000B068: D0480030 0003CFE7
	v_add3_u32 v50, v231, v53, 1                               // 00000000B070: D1FF0032 02066BE7
	v_cndmask_b32_e64 v55, v50, v52, s[48:49]                  // 00000000B078: D1000037 00C26932
	v_perm_b32 v227, v55, v54, s52                             // 00000000B080: D1ED00E3 00D26D37
	v_cmp_u_f32_e64 s[48:49], v232, v232                       // 00000000B088: D0480030 0003D1E8
	v_add3_u32 v50, v232, v53, 1                               // 00000000B090: D1FF0032 02066BE8
	v_cndmask_b32_e64 v54, v50, v52, s[48:49]                  // 00000000B098: D1000036 00C26932
	v_cmp_u_f32_e64 s[48:49], v233, v233                       // 00000000B0A0: D0480030 0003D3E9
	v_add3_u32 v50, v233, v53, 1                               // 00000000B0A8: D1FF0032 02066BE9
	v_cndmask_b32_e64 v55, v50, v52, s[48:49]                  // 00000000B0B0: D1000037 00C26932
	v_perm_b32 v228, v55, v54, s52                             // 00000000B0B8: D1ED00E4 00D26D37
	v_cmp_u_f32_e64 s[48:49], v234, v234                       // 00000000B0C0: D0480030 0003D5EA
	v_add3_u32 v50, v234, v53, 1                               // 00000000B0C8: D1FF0032 02066BEA
	v_cndmask_b32_e64 v54, v50, v52, s[48:49]                  // 00000000B0D0: D1000036 00C26932
	v_cmp_u_f32_e64 s[48:49], v235, v235                       // 00000000B0D8: D0480030 0003D7EB
	v_add3_u32 v50, v235, v53, 1                               // 00000000B0E0: D1FF0032 02066BEB
	v_cndmask_b32_e64 v55, v50, v52, s[48:49]                  // 00000000B0E8: D1000037 00C26932
	v_perm_b32 v229, v55, v54, s52                             // 00000000B0F0: D1ED00E5 00D26D37
	v_cmp_u_f32_e64 s[48:49], v236, v236                       // 00000000B0F8: D0480030 0003D9EC
	v_add3_u32 v50, v236, v53, 1                               // 00000000B100: D1FF0032 02066BEC
	v_cndmask_b32_e64 v54, v50, v52, s[48:49]                  // 00000000B108: D1000036 00C26932
	v_cmp_u_f32_e64 s[48:49], v237, v237                       // 00000000B110: D0480030 0003DBED
	v_add3_u32 v50, v237, v53, 1                               // 00000000B118: D1FF0032 02066BED
	v_cndmask_b32_e64 v55, v50, v52, s[48:49]                  // 00000000B120: D1000037 00C26932
	v_perm_b32 v230, v55, v54, s52                             // 00000000B128: D1ED00E6 00D26D37
	v_cmp_u_f32_e64 s[48:49], v238, v238                       // 00000000B130: D0480030 0003DDEE
	v_add3_u32 v50, v238, v53, 1                               // 00000000B138: D1FF0032 02066BEE
	v_cndmask_b32_e64 v54, v50, v52, s[48:49]                  // 00000000B140: D1000036 00C26932
	v_cmp_u_f32_e64 s[48:49], v239, v239                       // 00000000B148: D0480030 0003DFEF
	v_add3_u32 v50, v239, v53, 1                               // 00000000B150: D1FF0032 02066BEF
	v_cndmask_b32_e64 v55, v50, v52, s[48:49]                  // 00000000B158: D1000037 00C26932
	v_perm_b32 v231, v55, v54, s52                             // 00000000B160: D1ED00E7 00D26D37
	v_cmp_u_f32_e64 s[48:49], v240, v240                       // 00000000B168: D0480030 0003E1F0
	v_add3_u32 v50, v240, v53, 1                               // 00000000B170: D1FF0032 02066BF0
	v_cndmask_b32_e64 v54, v50, v52, s[48:49]                  // 00000000B178: D1000036 00C26932
	v_cmp_u_f32_e64 s[48:49], v241, v241                       // 00000000B180: D0480030 0003E3F1
	v_add3_u32 v50, v241, v53, 1                               // 00000000B188: D1FF0032 02066BF1
	v_cndmask_b32_e64 v55, v50, v52, s[48:49]                  // 00000000B190: D1000037 00C26932
	v_perm_b32 v232, v55, v54, s52                             // 00000000B198: D1ED00E8 00D26D37
	v_cmp_u_f32_e64 s[48:49], v242, v242                       // 00000000B1A0: D0480030 0003E5F2
	v_add3_u32 v50, v242, v53, 1                               // 00000000B1A8: D1FF0032 02066BF2
	v_cndmask_b32_e64 v54, v50, v52, s[48:49]                  // 00000000B1B0: D1000036 00C26932
	v_cmp_u_f32_e64 s[48:49], v243, v243                       // 00000000B1B8: D0480030 0003E7F3
	v_add3_u32 v50, v243, v53, 1                               // 00000000B1C0: D1FF0032 02066BF3
	v_cndmask_b32_e64 v55, v50, v52, s[48:49]                  // 00000000B1C8: D1000037 00C26932
	v_perm_b32 v233, v55, v54, s52                             // 00000000B1D0: D1ED00E9 00D26D37
	v_cmp_u_f32_e64 s[48:49], v244, v244                       // 00000000B1D8: D0480030 0003E9F4
	v_add3_u32 v50, v244, v53, 1                               // 00000000B1E0: D1FF0032 02066BF4
	v_cndmask_b32_e64 v54, v50, v52, s[48:49]                  // 00000000B1E8: D1000036 00C26932
	v_cmp_u_f32_e64 s[48:49], v245, v245                       // 00000000B1F0: D0480030 0003EBF5
	v_add3_u32 v50, v245, v53, 1                               // 00000000B1F8: D1FF0032 02066BF5
	v_cndmask_b32_e64 v55, v50, v52, s[48:49]                  // 00000000B200: D1000037 00C26932
	v_perm_b32 v234, v55, v54, s52                             // 00000000B208: D1ED00EA 00D26D37
	v_cmp_u_f32_e64 s[48:49], v246, v246                       // 00000000B210: D0480030 0003EDF6
	v_add3_u32 v50, v246, v53, 1                               // 00000000B218: D1FF0032 02066BF6
	v_cndmask_b32_e64 v54, v50, v52, s[48:49]                  // 00000000B220: D1000036 00C26932
	v_cmp_u_f32_e64 s[48:49], v247, v247                       // 00000000B228: D0480030 0003EFF7
	v_add3_u32 v50, v247, v53, 1                               // 00000000B230: D1FF0032 02066BF7
	v_cndmask_b32_e64 v55, v50, v52, s[48:49]                  // 00000000B238: D1000037 00C26932
	v_perm_b32 v235, v55, v54, s52                             // 00000000B240: D1ED00EB 00D26D37
	v_cmp_u_f32_e64 s[48:49], v248, v248                       // 00000000B248: D0480030 0003F1F8
	v_add3_u32 v50, v248, v53, 1                               // 00000000B250: D1FF0032 02066BF8
	v_cndmask_b32_e64 v54, v50, v52, s[48:49]                  // 00000000B258: D1000036 00C26932
	v_cmp_u_f32_e64 s[48:49], v249, v249                       // 00000000B260: D0480030 0003F3F9
	v_add3_u32 v50, v249, v53, 1                               // 00000000B268: D1FF0032 02066BF9
	v_cndmask_b32_e64 v55, v50, v52, s[48:49]                  // 00000000B270: D1000037 00C26932
	v_perm_b32 v236, v55, v54, s52                             // 00000000B278: D1ED00EC 00D26D37
	v_cmp_u_f32_e64 s[48:49], v250, v250                       // 00000000B280: D0480030 0003F5FA
	v_add3_u32 v50, v250, v53, 1                               // 00000000B288: D1FF0032 02066BFA
	v_cndmask_b32_e64 v54, v50, v52, s[48:49]                  // 00000000B290: D1000036 00C26932
	v_cmp_u_f32_e64 s[48:49], v251, v251                       // 00000000B298: D0480030 0003F7FB
	v_add3_u32 v50, v251, v53, 1                               // 00000000B2A0: D1FF0032 02066BFB
	v_cndmask_b32_e64 v55, v50, v52, s[48:49]                  // 00000000B2A8: D1000037 00C26932
	v_perm_b32 v237, v55, v54, s52                             // 00000000B2B0: D1ED00ED 00D26D37
	v_cmp_u_f32_e64 s[48:49], v252, v252                       // 00000000B2B8: D0480030 0003F9FC
	v_add3_u32 v50, v252, v53, 1                               // 00000000B2C0: D1FF0032 02066BFC
	v_cndmask_b32_e64 v54, v50, v52, s[48:49]                  // 00000000B2C8: D1000036 00C26932
	v_cmp_u_f32_e64 s[48:49], v253, v253                       // 00000000B2D0: D0480030 0003FBFD
	v_add3_u32 v50, v253, v53, 1                               // 00000000B2D8: D1FF0032 02066BFD
	v_cndmask_b32_e64 v55, v50, v52, s[48:49]                  // 00000000B2E0: D1000037 00C26932
	v_perm_b32 v238, v55, v54, s52                             // 00000000B2E8: D1ED00EE 00D26D37
	v_cmp_u_f32_e64 s[48:49], v254, v254                       // 00000000B2F0: D0480030 0003FDFE
	v_add3_u32 v50, v254, v53, 1                               // 00000000B2F8: D1FF0032 02066BFE
	v_cndmask_b32_e64 v54, v50, v52, s[48:49]                  // 00000000B300: D1000036 00C26932
	v_cmp_u_f32_e64 s[48:49], v255, v255                       // 00000000B308: D0480030 0003FFFF
	v_add3_u32 v50, v255, v53, 1                               // 00000000B310: D1FF0032 02066BFF
	v_cndmask_b32_e64 v55, v50, v52, s[48:49]                  // 00000000B318: D1000037 00C26932
	v_perm_b32 v239, v55, v54, s52                             // 00000000B320: D1ED00EF 00D26D37
	s_setvskip s20, 0                                          // 00000000B328: BF108014
	global_atomic_pk_add_bf16 v80, v64, s[8:9]                 // 00000000B32C: DD488000 00084050
	s_setvskip 0, 0                                            // 00000000B334: BF108080
	s_setvskip s20, 0                                          // 00000000B338: BF108014
	global_atomic_pk_add_bf16 v80, v65, s[8:9] offset:256      // 00000000B33C: DD488100 00084150
	s_setvskip 0, 0                                            // 00000000B344: BF108080
	s_setvskip s20, 1                                          // 00000000B348: BF108114
	global_atomic_pk_add_bf16 v82, v66, s[8:9]                 // 00000000B34C: DD488000 00084252
	s_setvskip 0, 0                                            // 00000000B354: BF108080
	s_setvskip s20, 1                                          // 00000000B358: BF108114
	global_atomic_pk_add_bf16 v82, v67, s[8:9] offset:256      // 00000000B35C: DD488100 00084352
	s_setvskip 0, 0                                            // 00000000B364: BF108080
	s_setvskip s20, 2                                          // 00000000B368: BF108214
	global_atomic_pk_add_bf16 v84, v68, s[8:9]                 // 00000000B36C: DD488000 00084454
	s_setvskip 0, 0                                            // 00000000B374: BF108080
	s_setvskip s20, 2                                          // 00000000B378: BF108214
	global_atomic_pk_add_bf16 v84, v69, s[8:9] offset:256      // 00000000B37C: DD488100 00084554
	s_setvskip 0, 0                                            // 00000000B384: BF108080
	s_setvskip s20, 3                                          // 00000000B388: BF108314
	global_atomic_pk_add_bf16 v86, v70, s[8:9]                 // 00000000B38C: DD488000 00084656
	s_setvskip 0, 0                                            // 00000000B394: BF108080
	s_setvskip s20, 3                                          // 00000000B398: BF108314
	global_atomic_pk_add_bf16 v86, v71, s[8:9] offset:256      // 00000000B39C: DD488100 00084756
	s_setvskip 0, 0                                            // 00000000B3A4: BF108080
	s_setvskip s20, 4                                          // 00000000B3A8: BF108414
	global_atomic_pk_add_bf16 v88, v72, s[8:9]                 // 00000000B3AC: DD488000 00084858
	s_setvskip 0, 0                                            // 00000000B3B4: BF108080
	s_setvskip s20, 4                                          // 00000000B3B8: BF108414
	global_atomic_pk_add_bf16 v88, v73, s[8:9] offset:256      // 00000000B3BC: DD488100 00084958
	s_setvskip 0, 0                                            // 00000000B3C4: BF108080
	s_setvskip s20, 5                                          // 00000000B3C8: BF108514
	global_atomic_pk_add_bf16 v90, v74, s[8:9]                 // 00000000B3CC: DD488000 00084A5A
	s_setvskip 0, 0                                            // 00000000B3D4: BF108080
	s_setvskip s20, 5                                          // 00000000B3D8: BF108514
	global_atomic_pk_add_bf16 v90, v75, s[8:9] offset:256      // 00000000B3DC: DD488100 00084B5A
	s_setvskip 0, 0                                            // 00000000B3E4: BF108080
	s_setvskip s20, 6                                          // 00000000B3E8: BF108614
	global_atomic_pk_add_bf16 v92, v76, s[8:9]                 // 00000000B3EC: DD488000 00084C5C
	s_setvskip 0, 0                                            // 00000000B3F4: BF108080
	s_setvskip s20, 6                                          // 00000000B3F8: BF108614
	global_atomic_pk_add_bf16 v92, v77, s[8:9] offset:256      // 00000000B3FC: DD488100 00084D5C
	s_setvskip 0, 0                                            // 00000000B404: BF108080
	s_setvskip s20, 7                                          // 00000000B408: BF108714
	global_atomic_pk_add_bf16 v94, v78, s[8:9]                 // 00000000B40C: DD488000 00084E5E
	s_setvskip 0, 0                                            // 00000000B414: BF108080
	s_setvskip s20, 7                                          // 00000000B418: BF108714
	global_atomic_pk_add_bf16 v94, v79, s[8:9] offset:256      // 00000000B41C: DD488100 00084F5E
	s_setvskip 0, 0                                            // 00000000B424: BF108080
	s_cmp_ge_u32 s80, 0x200                                    // 00000000B428: BF09FF50 00000200
	s_cselect_b32 s59, 0x200, s59                              // 00000000B430: 853B3BFF 00000200
	s_add_u32 s8, s59, s8                                      // 00000000B438: 8008083B
	s_addc_u32 s9, 0, s9                                       // 00000000B43C: 82090980
	s_addk_i32 s80, 0x100                                      // 00000000B440: B7500100
	s_cmp_lt_i32 s80, s81                                      // 00000000B444: BF045150
	s_cbranch_scc0 label_121C                                  // 00000000B448: BF84F089
	s_branch label_1AEB                                        // 00000000B44C: BF82F957

000000000000b450 <label_2194>:
	s_waitcnt lgkmcnt(0)                                       // 00000000B450: BF8CC07F
	s_barrier                                                  // 00000000B454: BF8A0000
	ds_read_b32 v64, v4 offset:18688                           // 00000000B458: D86C4900 40000004
	ds_read_b32 v65, v4 offset:23040                           // 00000000B460: D86C5A00 41000004
	ds_read_b32 v66, v4 offset:18720                           // 00000000B468: D86C4920 42000004
	ds_read_b32 v67, v4 offset:23072                           // 00000000B470: D86C5A20 43000004
	ds_read_b32 v68, v4 offset:18752                           // 00000000B478: D86C4940 44000004
	ds_read_b32 v69, v4 offset:23104                           // 00000000B480: D86C5A40 45000004
	ds_read_b32 v70, v4 offset:18784                           // 00000000B488: D86C4960 46000004
	ds_read_b32 v71, v4 offset:23136                           // 00000000B490: D86C5A60 47000004
	ds_read_b32 v72, v4 offset:27392                           // 00000000B498: D86C6B00 48000004
	ds_read_b32 v73, v4 offset:31744                           // 00000000B4A0: D86C7C00 49000004
	ds_read_b32 v74, v4 offset:27424                           // 00000000B4A8: D86C6B20 4A000004
	ds_read_b32 v75, v4 offset:31776                           // 00000000B4B0: D86C7C20 4B000004
	ds_read_b32 v76, v4 offset:27456                           // 00000000B4B8: D86C6B40 4C000004
	ds_read_b32 v77, v4 offset:31808                           // 00000000B4C0: D86C7C40 4D000004
	ds_read_b32 v78, v4 offset:27488                           // 00000000B4C8: D86C6B60 4E000004
	ds_read_b32 v79, v4 offset:31840                           // 00000000B4D0: D86C7C60 4F000004
	s_waitcnt lgkmcnt(0)                                       // 00000000B4D8: BF8CC07F
	s_setvskip s20, 0                                          // 00000000B4DC: BF108014
	global_atomic_pk_add_bf16 v80, v64, s[8:9]                 // 00000000B4E0: DD488000 00084050
	s_setvskip 0, 0                                            // 00000000B4E8: BF108080
	s_setvskip s20, 0                                          // 00000000B4EC: BF108014
	global_atomic_pk_add_bf16 v80, v65, s[8:9] offset:256      // 00000000B4F0: DD488100 00084150
	s_setvskip 0, 0                                            // 00000000B4F8: BF108080
	s_setvskip s20, 1                                          // 00000000B4FC: BF108114
	global_atomic_pk_add_bf16 v82, v66, s[8:9]                 // 00000000B500: DD488000 00084252
	s_setvskip 0, 0                                            // 00000000B508: BF108080
	s_setvskip s20, 1                                          // 00000000B50C: BF108114
	global_atomic_pk_add_bf16 v82, v67, s[8:9] offset:256      // 00000000B510: DD488100 00084352
	s_setvskip 0, 0                                            // 00000000B518: BF108080
	s_setvskip s20, 2                                          // 00000000B51C: BF108214
	global_atomic_pk_add_bf16 v84, v68, s[8:9]                 // 00000000B520: DD488000 00084454
	s_setvskip 0, 0                                            // 00000000B528: BF108080
	s_setvskip s20, 2                                          // 00000000B52C: BF108214
	global_atomic_pk_add_bf16 v84, v69, s[8:9] offset:256      // 00000000B530: DD488100 00084554
	s_setvskip 0, 0                                            // 00000000B538: BF108080
	s_setvskip s20, 3                                          // 00000000B53C: BF108314
	global_atomic_pk_add_bf16 v86, v70, s[8:9]                 // 00000000B540: DD488000 00084656
	s_setvskip 0, 0                                            // 00000000B548: BF108080
	s_setvskip s20, 3                                          // 00000000B54C: BF108314
	global_atomic_pk_add_bf16 v86, v71, s[8:9] offset:256      // 00000000B550: DD488100 00084756
	s_setvskip 0, 0                                            // 00000000B558: BF108080
	s_setvskip s20, 4                                          // 00000000B55C: BF108414
	global_atomic_pk_add_bf16 v88, v72, s[8:9]                 // 00000000B560: DD488000 00084858
	s_setvskip 0, 0                                            // 00000000B568: BF108080
	s_setvskip s20, 4                                          // 00000000B56C: BF108414
	global_atomic_pk_add_bf16 v88, v73, s[8:9] offset:256      // 00000000B570: DD488100 00084958
	s_setvskip 0, 0                                            // 00000000B578: BF108080
	s_setvskip s20, 5                                          // 00000000B57C: BF108514
	global_atomic_pk_add_bf16 v90, v74, s[8:9]                 // 00000000B580: DD488000 00084A5A
	s_setvskip 0, 0                                            // 00000000B588: BF108080
	s_setvskip s20, 5                                          // 00000000B58C: BF108514
	global_atomic_pk_add_bf16 v90, v75, s[8:9] offset:256      // 00000000B590: DD488100 00084B5A
	s_setvskip 0, 0                                            // 00000000B598: BF108080
	s_setvskip s20, 6                                          // 00000000B59C: BF108614
	global_atomic_pk_add_bf16 v92, v76, s[8:9]                 // 00000000B5A0: DD488000 00084C5C
	s_setvskip 0, 0                                            // 00000000B5A8: BF108080
	s_setvskip s20, 6                                          // 00000000B5AC: BF108614
	global_atomic_pk_add_bf16 v92, v77, s[8:9] offset:256      // 00000000B5B0: DD488100 00084D5C
	s_setvskip 0, 0                                            // 00000000B5B8: BF108080
	s_setvskip s20, 7                                          // 00000000B5BC: BF108714
	global_atomic_pk_add_bf16 v94, v78, s[8:9]                 // 00000000B5C0: DD488000 00084E5E
	s_setvskip 0, 0                                            // 00000000B5C8: BF108080
	s_setvskip s20, 7                                          // 00000000B5CC: BF108714
	global_atomic_pk_add_bf16 v94, v79, s[8:9] offset:256      // 00000000B5D0: DD488100 00084F5E
	s_setvskip 0, 0                                            // 00000000B5D8: BF108080
	s_add_u32 s8, s59, s8                                      // 00000000B5DC: 8008083B
	s_addc_u32 s9, 0, s9                                       // 00000000B5E0: 82090980
	ds_write_b64 v3, v[224:225] offset:36096                   // 00000000B5E4: D89A8D00 0000E003
	ds_write_b64 v3, v[226:227] offset:44800                   // 00000000B5EC: D89AAF00 0000E203
	ds_write_b64 v3, v[228:229] offset:38272                   // 00000000B5F4: D89A9580 0000E403
	ds_write_b64 v3, v[230:231] offset:46976                   // 00000000B5FC: D89AB780 0000E603
	ds_write_b64 v3, v[232:233] offset:40448                   // 00000000B604: D89A9E00 0000E803
	ds_write_b64 v3, v[234:235] offset:49152                   // 00000000B60C: D89AC000 0000EA03
	ds_write_b64 v3, v[236:237] offset:42624                   // 00000000B614: D89AA680 0000EC03
	ds_write_b64 v3, v[238:239] offset:51328                   // 00000000B61C: D89AC880 0000EE03
	s_waitcnt lgkmcnt(0)                                       // 00000000B624: BF8CC07F
	s_barrier                                                  // 00000000B628: BF8A0000
	ds_read_b32 v64, v4 offset:36096                           // 00000000B62C: D86C8D00 40000004
	ds_read_b32 v65, v4 offset:40448                           // 00000000B634: D86C9E00 41000004
	ds_read_b32 v66, v4 offset:36128                           // 00000000B63C: D86C8D20 42000004
	ds_read_b32 v67, v4 offset:40480                           // 00000000B644: D86C9E20 43000004
	ds_read_b32 v68, v4 offset:36160                           // 00000000B64C: D86C8D40 44000004
	ds_read_b32 v69, v4 offset:40512                           // 00000000B654: D86C9E40 45000004
	ds_read_b32 v70, v4 offset:36192                           // 00000000B65C: D86C8D60 46000004
	ds_read_b32 v71, v4 offset:40544                           // 00000000B664: D86C9E60 47000004
	ds_read_b32 v72, v4 offset:44800                           // 00000000B66C: D86CAF00 48000004
	ds_read_b32 v73, v4 offset:49152                           // 00000000B674: D86CC000 49000004
	ds_read_b32 v74, v4 offset:44832                           // 00000000B67C: D86CAF20 4A000004
	ds_read_b32 v75, v4 offset:49184                           // 00000000B684: D86CC020 4B000004
	ds_read_b32 v76, v4 offset:44864                           // 00000000B68C: D86CAF40 4C000004
	ds_read_b32 v77, v4 offset:49216                           // 00000000B694: D86CC040 4D000004
	ds_read_b32 v78, v4 offset:44896                           // 00000000B69C: D86CAF60 4E000004
	ds_read_b32 v79, v4 offset:49248                           // 00000000B6A4: D86CC060 4F000004
	s_waitcnt lgkmcnt(0)                                       // 00000000B6AC: BF8CC07F
	s_setvskip s20, 0                                          // 00000000B6B0: BF108014
	global_atomic_pk_add_bf16 v80, v64, s[8:9]                 // 00000000B6B4: DD488000 00084050
	s_setvskip 0, 0                                            // 00000000B6BC: BF108080
	s_setvskip s20, 0                                          // 00000000B6C0: BF108014
	global_atomic_pk_add_bf16 v80, v65, s[8:9] offset:256      // 00000000B6C4: DD488100 00084150
	s_setvskip 0, 0                                            // 00000000B6CC: BF108080
	s_setvskip s20, 1                                          // 00000000B6D0: BF108114
	global_atomic_pk_add_bf16 v82, v66, s[8:9]                 // 00000000B6D4: DD488000 00084252
	s_setvskip 0, 0                                            // 00000000B6DC: BF108080
	s_setvskip s20, 1                                          // 00000000B6E0: BF108114
	global_atomic_pk_add_bf16 v82, v67, s[8:9] offset:256      // 00000000B6E4: DD488100 00084352
	s_setvskip 0, 0                                            // 00000000B6EC: BF108080
	s_setvskip s20, 2                                          // 00000000B6F0: BF108214
	global_atomic_pk_add_bf16 v84, v68, s[8:9]                 // 00000000B6F4: DD488000 00084454
	s_setvskip 0, 0                                            // 00000000B6FC: BF108080
	s_setvskip s20, 2                                          // 00000000B700: BF108214
	global_atomic_pk_add_bf16 v84, v69, s[8:9] offset:256      // 00000000B704: DD488100 00084554
	s_setvskip 0, 0                                            // 00000000B70C: BF108080
	s_setvskip s20, 3                                          // 00000000B710: BF108314
	global_atomic_pk_add_bf16 v86, v70, s[8:9]                 // 00000000B714: DD488000 00084656
	s_setvskip 0, 0                                            // 00000000B71C: BF108080
	s_setvskip s20, 3                                          // 00000000B720: BF108314
	global_atomic_pk_add_bf16 v86, v71, s[8:9] offset:256      // 00000000B724: DD488100 00084756
	s_setvskip 0, 0                                            // 00000000B72C: BF108080
	s_setvskip s20, 4                                          // 00000000B730: BF108414
	global_atomic_pk_add_bf16 v88, v72, s[8:9]                 // 00000000B734: DD488000 00084858
	s_setvskip 0, 0                                            // 00000000B73C: BF108080
	s_setvskip s20, 4                                          // 00000000B740: BF108414
	global_atomic_pk_add_bf16 v88, v73, s[8:9] offset:256      // 00000000B744: DD488100 00084958
	s_setvskip 0, 0                                            // 00000000B74C: BF108080
	s_setvskip s20, 5                                          // 00000000B750: BF108514
	global_atomic_pk_add_bf16 v90, v74, s[8:9]                 // 00000000B754: DD488000 00084A5A
	s_setvskip 0, 0                                            // 00000000B75C: BF108080
	s_setvskip s20, 5                                          // 00000000B760: BF108514
	global_atomic_pk_add_bf16 v90, v75, s[8:9] offset:256      // 00000000B764: DD488100 00084B5A
	s_setvskip 0, 0                                            // 00000000B76C: BF108080
	s_setvskip s20, 6                                          // 00000000B770: BF108614
	global_atomic_pk_add_bf16 v92, v76, s[8:9]                 // 00000000B774: DD488000 00084C5C
	s_setvskip 0, 0                                            // 00000000B77C: BF108080
	s_setvskip s20, 6                                          // 00000000B780: BF108614
	global_atomic_pk_add_bf16 v92, v77, s[8:9] offset:256      // 00000000B784: DD488100 00084D5C
	s_setvskip 0, 0                                            // 00000000B78C: BF108080
	s_setvskip s20, 7                                          // 00000000B790: BF108714
	global_atomic_pk_add_bf16 v94, v78, s[8:9]                 // 00000000B794: DD488000 00084E5E
	s_setvskip 0, 0                                            // 00000000B79C: BF108080
	s_setvskip s20, 7                                          // 00000000B7A0: BF108714
	global_atomic_pk_add_bf16 v94, v79, s[8:9] offset:256      // 00000000B7A4: DD488100 00084F5E
	s_setvskip 0, 0                                            // 00000000B7AC: BF108080

000000000000b7b0 <label_226C>:
	s_waitcnt vmcnt(0) expcnt(0) lgkmcnt(0)                    // 00000000B7B0: BF8C0000
	s_endpgm                                                   // 00000000B7B4: BF810000
